;; amdgpu-corpus repo=ROCm/rocFFT kind=compiled arch=gfx950 opt=O3
	.text
	.amdgcn_target "amdgcn-amd-amdhsa--gfx950"
	.amdhsa_code_object_version 6
	.protected	bluestein_single_back_len1782_dim1_half_op_CI_CI ; -- Begin function bluestein_single_back_len1782_dim1_half_op_CI_CI
	.globl	bluestein_single_back_len1782_dim1_half_op_CI_CI
	.p2align	8
	.type	bluestein_single_back_len1782_dim1_half_op_CI_CI,@function
bluestein_single_back_len1782_dim1_half_op_CI_CI: ; @bluestein_single_back_len1782_dim1_half_op_CI_CI
; %bb.0:
	s_load_dwordx4 s[8:11], s[0:1], 0x28
	v_mul_u32_u24_e32 v1, 0x296, v0
	v_mov_b32_e32 v5, 0
	v_add_u32_sdwa v6, s2, v1 dst_sel:DWORD dst_unused:UNUSED_PAD src0_sel:DWORD src1_sel:WORD_1
	v_mov_b32_e32 v7, v5
	s_waitcnt lgkmcnt(0)
	v_cmp_gt_u64_e32 vcc, s[8:9], v[6:7]
	s_and_saveexec_b64 s[2:3], vcc
	s_cbranch_execz .LBB0_15
; %bb.1:
	s_load_dwordx4 s[4:7], s[0:1], 0x18
	s_load_dwordx2 s[12:13], s[0:1], 0x0
	v_mov_b32_e32 v2, s10
	v_mov_b32_e32 v3, s11
	s_movk_i32 s2, 0x63
	s_waitcnt lgkmcnt(0)
	s_load_dwordx4 s[8:11], s[4:5], 0x0
	v_mul_lo_u16_sdwa v1, v1, s2 dst_sel:DWORD dst_unused:UNUSED_PAD src0_sel:WORD_1 src1_sel:DWORD
	v_sub_u16_e32 v4, v0, v1
	s_waitcnt lgkmcnt(0)
	v_mad_u64_u32 v[0:1], s[2:3], s10, v6, 0
	v_mov_b32_e32 v8, v1
	v_mad_u64_u32 v[8:9], s[2:3], s11, v6, v[8:9]
	v_mov_b32_e32 v1, v8
	;; [unrolled: 2-line block ×3, first 2 shown]
	v_mad_u64_u32 v[10:11], s[2:3], s9, v4, v[10:11]
	s_mul_i32 s2, s9, 0xa2
	s_mul_hi_u32 s3, s8, 0xa2
	v_mov_b32_e32 v9, v10
	v_lshl_add_u64 v[0:1], v[0:1], 2, v[2:3]
	s_add_i32 s3, s3, s2
	s_mul_i32 s2, s8, 0xa2
	v_lshl_add_u64 v[2:3], v[8:9], 2, v[0:1]
	v_lshlrev_b32_e32 v0, 2, v4
	s_lshl_b64 s[10:11], s[2:3], 2
	global_load_dword v76, v0, s[12:13]
	global_load_dword v13, v[2:3], off
	v_lshl_add_u64 v[2:3], v[2:3], 0, s[10:11]
	global_load_dword v14, v[2:3], off
	global_load_dword v75, v0, s[12:13] offset:648
	v_lshl_add_u64 v[2:3], v[2:3], 0, s[10:11]
	global_load_dword v15, v[2:3], off
	global_load_dword v74, v0, s[12:13] offset:1296
	v_lshl_add_u64 v[2:3], v[2:3], 0, s[10:11]
	global_load_dword v16, v[2:3], off
	global_load_dword v73, v0, s[12:13] offset:1944
	v_lshl_add_u64 v[2:3], v[2:3], 0, s[10:11]
	global_load_dword v17, v[2:3], off
	global_load_dword v72, v0, s[12:13] offset:2592
	v_lshl_add_u64 v[8:9], v[2:3], 0, s[10:11]
	global_load_dword v18, v[8:9], off
	global_load_dword v71, v0, s[12:13] offset:3240
	v_lshl_add_u64 v[10:11], v[8:9], 0, s[10:11]
	global_load_dword v19, v[10:11], off
	v_mov_b32_e32 v1, v5
	global_load_dword v70, v0, s[12:13] offset:3888
	s_movk_i32 s2, 0x1000
	v_lshl_add_u64 v[2:3], s[12:13], 0, v[0:1]
	v_add_co_u32_e32 v8, vcc, s2, v2
	v_lshl_add_u64 v[10:11], v[10:11], 0, s[10:11]
	s_nop 0
	v_addc_co_u32_e32 v9, vcc, 0, v3, vcc
	global_load_dword v20, v[10:11], off
	global_load_dword v69, v[8:9], off offset:440
	v_lshl_add_u64 v[10:11], v[10:11], 0, s[10:11]
	global_load_dword v21, v[10:11], off
	global_load_dword v68, v[8:9], off offset:1088
	v_lshl_add_u64 v[10:11], v[10:11], 0, s[10:11]
	global_load_dword v22, v[10:11], off
	global_load_dword v7, v[8:9], off offset:1736
	v_lshl_add_u64 v[10:11], v[10:11], 0, s[10:11]
	global_load_dword v23, v[10:11], off
	global_load_dword v1, v[8:9], off offset:2384
	v_add_u32_e32 v12, 0x400, v0
	s_load_dwordx2 s[2:3], s[0:1], 0x38
	v_cmp_gt_u16_e32 vcc, 63, v4
	s_load_dwordx4 s[4:7], s[6:7], 0x0
	s_waitcnt vmcnt(20)
	v_lshrrev_b32_e32 v24, 16, v13
	v_mul_f16_sdwa v25, v76, v13 dst_sel:DWORD dst_unused:UNUSED_PAD src0_sel:WORD_1 src1_sel:DWORD
	v_mul_f16_sdwa v26, v76, v24 dst_sel:DWORD dst_unused:UNUSED_PAD src0_sel:WORD_1 src1_sel:DWORD
	v_fma_f16 v24, v76, v24, -v25
	s_waitcnt vmcnt(19)
	v_lshrrev_b32_e32 v25, 16, v14
	s_waitcnt vmcnt(18)
	v_mul_f16_sdwa v27, v75, v14 dst_sel:DWORD dst_unused:UNUSED_PAD src0_sel:WORD_1 src1_sel:DWORD
	v_fma_f16 v13, v76, v13, v26
	v_mul_f16_sdwa v26, v75, v25 dst_sel:DWORD dst_unused:UNUSED_PAD src0_sel:WORD_1 src1_sel:DWORD
	v_fma_f16 v25, v75, v25, -v27
	s_waitcnt vmcnt(17)
	v_lshrrev_b32_e32 v27, 16, v15
	s_waitcnt vmcnt(16)
	v_mul_f16_sdwa v28, v74, v15 dst_sel:DWORD dst_unused:UNUSED_PAD src0_sel:WORD_1 src1_sel:DWORD
	v_pack_b32_f16 v13, v13, v24
	v_fma_f16 v14, v75, v14, v26
	v_mul_f16_sdwa v24, v74, v27 dst_sel:DWORD dst_unused:UNUSED_PAD src0_sel:WORD_1 src1_sel:DWORD
	v_fma_f16 v26, v74, v27, -v28
	s_waitcnt vmcnt(15)
	v_lshrrev_b32_e32 v27, 16, v16
	s_waitcnt vmcnt(14)
	v_mul_f16_sdwa v28, v73, v16 dst_sel:DWORD dst_unused:UNUSED_PAD src0_sel:WORD_1 src1_sel:DWORD
	v_pack_b32_f16 v14, v14, v25
	v_fma_f16 v15, v74, v15, v24
	v_mul_f16_sdwa v24, v73, v27 dst_sel:DWORD dst_unused:UNUSED_PAD src0_sel:WORD_1 src1_sel:DWORD
	v_fma_f16 v25, v73, v27, -v28
	s_waitcnt vmcnt(13)
	v_lshrrev_b32_e32 v27, 16, v17
	s_waitcnt vmcnt(12)
	v_mul_f16_sdwa v28, v72, v17 dst_sel:DWORD dst_unused:UNUSED_PAD src0_sel:WORD_1 src1_sel:DWORD
	ds_write2_b32 v0, v13, v14 offset1:162
	v_pack_b32_f16 v13, v15, v26
	v_fma_f16 v14, v73, v16, v24
	v_mul_f16_sdwa v15, v72, v27 dst_sel:DWORD dst_unused:UNUSED_PAD src0_sel:WORD_1 src1_sel:DWORD
	v_fma_f16 v16, v72, v27, -v28
	s_waitcnt vmcnt(11)
	v_lshrrev_b32_e32 v24, 16, v18
	v_pack_b32_f16 v14, v14, v25
	v_fma_f16 v15, v72, v17, v15
	s_waitcnt vmcnt(10)
	v_mul_f16_sdwa v17, v71, v24 dst_sel:DWORD dst_unused:UNUSED_PAD src0_sel:WORD_1 src1_sel:DWORD
	ds_write2_b32 v12, v13, v14 offset0:68 offset1:230
	v_pack_b32_f16 v14, v15, v16
	v_mul_f16_sdwa v15, v71, v18 dst_sel:DWORD dst_unused:UNUSED_PAD src0_sel:WORD_1 src1_sel:DWORD
	v_fma_f16 v13, v71, v18, v17
	v_fma_f16 v15, v71, v24, -v15
	v_pack_b32_f16 v15, v13, v15
	v_add_u32_e32 v13, 0xa00, v0
	ds_write2_b32 v13, v14, v15 offset0:8 offset1:170
	s_waitcnt vmcnt(9)
	v_lshrrev_b32_e32 v14, 16, v19
	s_waitcnt vmcnt(8)
	v_mul_f16_sdwa v15, v70, v14 dst_sel:DWORD dst_unused:UNUSED_PAD src0_sel:WORD_1 src1_sel:DWORD
	v_mul_f16_sdwa v16, v70, v19 dst_sel:DWORD dst_unused:UNUSED_PAD src0_sel:WORD_1 src1_sel:DWORD
	v_fma_f16 v15, v70, v19, v15
	v_fma_f16 v14, v70, v14, -v16
	v_pack_b32_f16 v15, v15, v14
	s_waitcnt vmcnt(7)
	v_lshrrev_b32_e32 v14, 16, v20
	s_waitcnt vmcnt(6)
	v_mul_f16_sdwa v16, v69, v14 dst_sel:DWORD dst_unused:UNUSED_PAD src0_sel:WORD_1 src1_sel:DWORD
	v_mul_f16_sdwa v17, v69, v20 dst_sel:DWORD dst_unused:UNUSED_PAD src0_sel:WORD_1 src1_sel:DWORD
	v_fma_f16 v16, v69, v20, v16
	v_fma_f16 v14, v69, v14, -v17
	v_pack_b32_f16 v16, v16, v14
	v_add_u32_e32 v14, 0xe00, v0
	ds_write2_b32 v14, v15, v16 offset0:76 offset1:238
	s_waitcnt vmcnt(5)
	v_lshrrev_b32_e32 v15, 16, v21
	s_waitcnt vmcnt(4)
	v_mul_f16_sdwa v16, v68, v15 dst_sel:DWORD dst_unused:UNUSED_PAD src0_sel:WORD_1 src1_sel:DWORD
	v_mul_f16_sdwa v17, v68, v21 dst_sel:DWORD dst_unused:UNUSED_PAD src0_sel:WORD_1 src1_sel:DWORD
	v_fma_f16 v16, v68, v21, v16
	v_fma_f16 v15, v68, v15, -v17
	v_pack_b32_f16 v16, v16, v15
	s_waitcnt vmcnt(3)
	v_lshrrev_b32_e32 v15, 16, v22
	s_waitcnt vmcnt(2)
	v_mul_f16_sdwa v17, v7, v15 dst_sel:DWORD dst_unused:UNUSED_PAD src0_sel:WORD_1 src1_sel:DWORD
	v_mul_f16_sdwa v18, v7, v22 dst_sel:DWORD dst_unused:UNUSED_PAD src0_sel:WORD_1 src1_sel:DWORD
	v_fma_f16 v17, v7, v22, v17
	v_fma_f16 v15, v7, v15, -v18
	v_pack_b32_f16 v17, v17, v15
	v_add_u32_e32 v15, 0x1400, v0
	ds_write2_b32 v15, v16, v17 offset0:16 offset1:178
	s_waitcnt vmcnt(1)
	v_lshrrev_b32_e32 v16, 16, v23
	s_waitcnt vmcnt(0)
	v_mul_f16_sdwa v17, v1, v16 dst_sel:DWORD dst_unused:UNUSED_PAD src0_sel:WORD_1 src1_sel:DWORD
	v_mul_f16_sdwa v18, v1, v23 dst_sel:DWORD dst_unused:UNUSED_PAD src0_sel:WORD_1 src1_sel:DWORD
	v_fma_f16 v17, v1, v23, v17
	v_fma_f16 v16, v1, v16, -v18
	v_pack_b32_f16 v16, v17, v16
	ds_write_b32 v0, v16 offset:6480
	s_and_saveexec_b64 s[14:15], vcc
	s_cbranch_execz .LBB0_3
; %bb.2:
	v_mov_b32_e32 v16, 0xffffe83c
	s_mulk_i32 s9, 0xe83c
	v_mad_u64_u32 v[10:11], s[16:17], s8, v16, v[10:11]
	s_sub_i32 s8, s9, s8
	v_add_u32_e32 v11, s8, v11
	global_load_dword v16, v[10:11], off
	global_load_dword v17, v[2:3], off offset:396
	v_lshl_add_u64 v[10:11], v[10:11], 0, s[10:11]
	global_load_dword v18, v[10:11], off
	global_load_dword v19, v[2:3], off offset:1044
	v_lshl_add_u64 v[10:11], v[10:11], 0, s[10:11]
	;; [unrolled: 3-line block ×10, first 2 shown]
	global_load_dword v36, v[10:11], off
	global_load_dword v37, v[8:9], off offset:2780
	v_add_u32_e32 v8, 0x100, v0
	v_add_u32_e32 v9, 0x600, v0
	;; [unrolled: 1-line block ×4, first 2 shown]
	s_waitcnt vmcnt(21)
	v_lshrrev_b32_e32 v38, 16, v16
	s_waitcnt vmcnt(20)
	v_mul_f16_sdwa v39, v17, v16 dst_sel:DWORD dst_unused:UNUSED_PAD src0_sel:WORD_1 src1_sel:DWORD
	v_mul_f16_sdwa v40, v17, v38 dst_sel:DWORD dst_unused:UNUSED_PAD src0_sel:WORD_1 src1_sel:DWORD
	v_fma_f16 v38, v17, v38, -v39
	s_waitcnt vmcnt(19)
	v_lshrrev_b32_e32 v39, 16, v18
	s_waitcnt vmcnt(18)
	v_mul_f16_sdwa v41, v19, v18 dst_sel:DWORD dst_unused:UNUSED_PAD src0_sel:WORD_1 src1_sel:DWORD
	v_fma_f16 v16, v17, v16, v40
	v_mul_f16_sdwa v17, v19, v39 dst_sel:DWORD dst_unused:UNUSED_PAD src0_sel:WORD_1 src1_sel:DWORD
	v_fma_f16 v39, v19, v39, -v41
	s_waitcnt vmcnt(17)
	v_lshrrev_b32_e32 v40, 16, v20
	s_waitcnt vmcnt(16)
	v_mul_f16_sdwa v41, v21, v20 dst_sel:DWORD dst_unused:UNUSED_PAD src0_sel:WORD_1 src1_sel:DWORD
	v_pack_b32_f16 v16, v16, v38
	v_fma_f16 v17, v19, v18, v17
	v_mul_f16_sdwa v18, v21, v40 dst_sel:DWORD dst_unused:UNUSED_PAD src0_sel:WORD_1 src1_sel:DWORD
	v_fma_f16 v19, v21, v40, -v41
	s_waitcnt vmcnt(15)
	v_lshrrev_b32_e32 v38, 16, v22
	s_waitcnt vmcnt(14)
	v_mul_f16_sdwa v40, v23, v22 dst_sel:DWORD dst_unused:UNUSED_PAD src0_sel:WORD_1 src1_sel:DWORD
	v_pack_b32_f16 v17, v17, v39
	v_fma_f16 v18, v21, v20, v18
	v_mul_f16_sdwa v20, v23, v38 dst_sel:DWORD dst_unused:UNUSED_PAD src0_sel:WORD_1 src1_sel:DWORD
	v_fma_f16 v21, v23, v38, -v40
	s_waitcnt vmcnt(13)
	v_lshrrev_b32_e32 v38, 16, v24
	s_waitcnt vmcnt(12)
	v_mul_f16_sdwa v39, v25, v24 dst_sel:DWORD dst_unused:UNUSED_PAD src0_sel:WORD_1 src1_sel:DWORD
	ds_write2_b32 v8, v16, v17 offset0:35 offset1:197
	v_pack_b32_f16 v8, v18, v19
	v_fma_f16 v16, v23, v22, v20
	v_mul_f16_sdwa v17, v25, v38 dst_sel:DWORD dst_unused:UNUSED_PAD src0_sel:WORD_1 src1_sel:DWORD
	s_waitcnt vmcnt(11)
	v_lshrrev_b32_e32 v19, 16, v26
	v_fma_f16 v18, v25, v38, -v39
	s_waitcnt vmcnt(10)
	v_mul_f16_sdwa v20, v27, v26 dst_sel:DWORD dst_unused:UNUSED_PAD src0_sel:WORD_1 src1_sel:DWORD
	v_pack_b32_f16 v16, v16, v21
	v_fma_f16 v17, v25, v24, v17
	v_mul_f16_sdwa v21, v27, v19 dst_sel:DWORD dst_unused:UNUSED_PAD src0_sel:WORD_1 src1_sel:DWORD
	v_fma_f16 v19, v27, v19, -v20
	s_waitcnt vmcnt(9)
	v_lshrrev_b32_e32 v20, 16, v28
	s_waitcnt vmcnt(8)
	v_mul_f16_sdwa v22, v29, v28 dst_sel:DWORD dst_unused:UNUSED_PAD src0_sel:WORD_1 src1_sel:DWORD
	ds_write2_b32 v9, v8, v16 offset0:39 offset1:201
	v_pack_b32_f16 v8, v17, v18
	v_fma_f16 v9, v27, v26, v21
	s_waitcnt vmcnt(7)
	v_lshrrev_b32_e32 v18, 16, v30
	v_mul_f16_sdwa v16, v29, v20 dst_sel:DWORD dst_unused:UNUSED_PAD src0_sel:WORD_1 src1_sel:DWORD
	v_fma_f16 v17, v29, v20, -v22
	s_waitcnt vmcnt(6)
	v_mul_f16_sdwa v20, v31, v30 dst_sel:DWORD dst_unused:UNUSED_PAD src0_sel:WORD_1 src1_sel:DWORD
	v_pack_b32_f16 v9, v9, v19
	v_mul_f16_sdwa v19, v31, v18 dst_sel:DWORD dst_unused:UNUSED_PAD src0_sel:WORD_1 src1_sel:DWORD
	v_fma_f16 v16, v29, v28, v16
	v_fma_f16 v18, v31, v18, -v20
	ds_write2_b32 v10, v8, v9 offset0:43 offset1:205
	v_fma_f16 v9, v31, v30, v19
	s_waitcnt vmcnt(5)
	v_lshrrev_b32_e32 v20, 16, v32
	v_pack_b32_f16 v8, v16, v17
	v_pack_b32_f16 v9, v9, v18
	ds_write2_b32 v11, v8, v9 offset0:47 offset1:209
	s_waitcnt vmcnt(4)
	v_mul_f16_sdwa v8, v33, v20 dst_sel:DWORD dst_unused:UNUSED_PAD src0_sel:WORD_1 src1_sel:DWORD
	v_mul_f16_sdwa v9, v33, v32 dst_sel:DWORD dst_unused:UNUSED_PAD src0_sel:WORD_1 src1_sel:DWORD
	v_fma_f16 v8, v33, v32, v8
	v_fma_f16 v9, v33, v20, -v9
	v_pack_b32_f16 v8, v8, v9
	s_waitcnt vmcnt(3)
	v_lshrrev_b32_e32 v9, 16, v34
	s_waitcnt vmcnt(2)
	v_mul_f16_sdwa v10, v35, v9 dst_sel:DWORD dst_unused:UNUSED_PAD src0_sel:WORD_1 src1_sel:DWORD
	v_mul_f16_sdwa v11, v35, v34 dst_sel:DWORD dst_unused:UNUSED_PAD src0_sel:WORD_1 src1_sel:DWORD
	v_fma_f16 v10, v35, v34, v10
	v_fma_f16 v9, v35, v9, -v11
	v_pack_b32_f16 v9, v10, v9
	v_add_u32_e32 v10, 0x1500, v0
	ds_write2_b32 v10, v8, v9 offset0:51 offset1:213
	s_waitcnt vmcnt(1)
	v_lshrrev_b32_e32 v8, 16, v36
	s_waitcnt vmcnt(0)
	v_mul_f16_sdwa v9, v37, v8 dst_sel:DWORD dst_unused:UNUSED_PAD src0_sel:WORD_1 src1_sel:DWORD
	v_mul_f16_sdwa v10, v37, v36 dst_sel:DWORD dst_unused:UNUSED_PAD src0_sel:WORD_1 src1_sel:DWORD
	v_fma_f16 v9, v37, v36, v9
	v_fma_f16 v8, v37, v8, -v10
	v_pack_b32_f16 v8, v9, v8
	ds_write_b32 v0, v8 offset:6876
.LBB0_3:
	s_or_b64 exec, exec, s[14:15]
	s_waitcnt lgkmcnt(0)
	s_barrier
	ds_read2_b32 v[8:9], v0 offset1:162
	ds_read2_b32 v[24:25], v12 offset0:68 offset1:230
	ds_read2_b32 v[10:11], v13 offset0:8 offset1:170
	;; [unrolled: 1-line block ×4, first 2 shown]
	ds_read_b32 v39, v0 offset:6480
	s_load_dwordx2 s[0:1], s[0:1], 0x8
	v_mov_b32_e32 v12, 0
                                        ; implicit-def: $vgpr17
                                        ; implicit-def: $vgpr32
                                        ; implicit-def: $vgpr20
                                        ; implicit-def: $vgpr33
                                        ; implicit-def: $vgpr35
                                        ; implicit-def: $vgpr38
                                        ; implicit-def: $vgpr36
                                        ; implicit-def: $vgpr37
                                        ; implicit-def: $vgpr19
                                        ; implicit-def: $vgpr34
                                        ; implicit-def: $vgpr28
                                        ; implicit-def: $vgpr15
                                        ; implicit-def: $vgpr29
                                        ; implicit-def: $vgpr30
                                        ; implicit-def: $vgpr31
	s_and_saveexec_b64 s[8:9], vcc
	s_cbranch_execz .LBB0_5
; %bb.4:
	v_add_u32_e32 v16, 0xb00, v0
	v_add_u32_e32 v12, 0x100, v0
	;; [unrolled: 1-line block ×3, first 2 shown]
	ds_read2_b32 v[18:19], v16 offset0:43 offset1:205
	v_add_u32_e32 v16, 0x1000, v0
	v_add_u32_e32 v20, 0x1500, v0
	ds_read2_b32 v[12:13], v12 offset0:35 offset1:197
	ds_read2_b32 v[14:15], v14 offset0:39 offset1:201
	;; [unrolled: 1-line block ×4, first 2 shown]
	ds_read_b32 v38, v0 offset:6876
	s_waitcnt lgkmcnt(0)
	v_lshrrev_b32_e32 v31, 16, v13
	v_lshrrev_b32_e32 v30, 16, v14
	;; [unrolled: 1-line block ×10, first 2 shown]
.LBB0_5:
	s_or_b64 exec, exec, s[8:9]
	s_waitcnt lgkmcnt(0)
	v_add_f16_e32 v40, v8, v9
	v_add_f16_sdwa v41, v8, v9 dst_sel:DWORD dst_unused:UNUSED_PAD src0_sel:WORD_1 src1_sel:WORD_1
	v_add_f16_e32 v40, v40, v24
	v_add_f16_sdwa v41, v41, v24 dst_sel:DWORD dst_unused:UNUSED_PAD src0_sel:DWORD src1_sel:WORD_1
	v_add_f16_e32 v40, v40, v25
	v_add_f16_sdwa v41, v41, v25 dst_sel:DWORD dst_unused:UNUSED_PAD src0_sel:DWORD src1_sel:WORD_1
	;; [unrolled: 2-line block ×7, first 2 shown]
	v_sub_f16_e32 v42, v9, v39
	v_add_f16_e32 v56, v40, v27
	v_add_f16_sdwa v57, v41, v27 dst_sel:DWORD dst_unused:UNUSED_PAD src0_sel:DWORD src1_sel:WORD_1
	v_add_f16_e32 v40, v39, v9
	v_add_f16_sdwa v41, v39, v9 dst_sel:DWORD dst_unused:UNUSED_PAD src0_sel:WORD_1 src1_sel:WORD_1
	v_sub_f16_sdwa v9, v9, v39 dst_sel:DWORD dst_unused:UNUSED_PAD src0_sel:WORD_1 src1_sel:WORD_1
	s_movk_i32 s10, 0x3abb
	v_mul_f16_e32 v45, 0xb853, v42
	v_mul_f16_e32 v43, 0xb853, v9
	v_fma_f16 v46, v41, s10, v45
	v_fma_f16 v45, v41, s10, -v45
	v_mul_f16_e32 v47, 0xbb47, v9
	s_movk_i32 s11, 0x36a6
	v_mul_f16_e32 v48, 0xbbeb, v9
	s_mov_b32 s14, 0xb08e
	v_add_f16_e32 v59, v26, v25
	v_add_f16_sdwa v60, v26, v25 dst_sel:DWORD dst_unused:UNUSED_PAD src0_sel:WORD_1 src1_sel:WORD_1
	v_sub_f16_e32 v61, v25, v26
	v_sub_f16_sdwa v62, v25, v26 dst_sel:DWORD dst_unused:UNUSED_PAD src0_sel:WORD_1 src1_sel:WORD_1
	v_add_f16_e32 v63, v23, v10
	v_add_f16_sdwa v64, v23, v10 dst_sel:DWORD dst_unused:UNUSED_PAD src0_sel:WORD_1 src1_sel:WORD_1
	v_sub_f16_e32 v65, v10, v23
	v_sub_f16_sdwa v66, v10, v23 dst_sel:DWORD dst_unused:UNUSED_PAD src0_sel:WORD_1 src1_sel:WORD_1
	v_mul_f16_e32 v10, 0xba0c, v9
	s_mov_b32 s15, 0xb93d
	v_mul_f16_e32 v9, 0xb482, v9
	s_mov_b32 s16, 0xbbad
	v_mul_f16_e32 v26, 0xbbeb, v42
	v_fma_f16 v44, v40, s10, -v43
	v_fma_f16 v43, v40, s10, v43
	v_fma_f16 v50, v40, s11, -v47
	v_mul_f16_e32 v52, 0xbb47, v42
	v_fma_f16 v47, v40, s11, v47
	v_fma_f16 v53, v40, s14, -v48
	v_fma_f16 v54, v40, s14, v48
	v_add_f16_e32 v49, v27, v24
	v_add_f16_sdwa v48, v27, v24 dst_sel:DWORD dst_unused:UNUSED_PAD src0_sel:WORD_1 src1_sel:WORD_1
	v_sub_f16_e32 v51, v24, v27
	v_sub_f16_sdwa v58, v24, v27 dst_sel:DWORD dst_unused:UNUSED_PAD src0_sel:WORD_1 src1_sel:WORD_1
	v_add_f16_e32 v67, v22, v11
	v_add_f16_sdwa v78, v22, v11 dst_sel:DWORD dst_unused:UNUSED_PAD src0_sel:WORD_1 src1_sel:WORD_1
	v_sub_f16_e32 v79, v11, v22
	v_sub_f16_sdwa v11, v11, v22 dst_sel:DWORD dst_unused:UNUSED_PAD src0_sel:WORD_1 src1_sel:WORD_1
	v_fma_f16 v22, v40, s15, -v10
	v_fma_f16 v10, v40, s15, v10
	v_fma_f16 v23, v40, s16, -v9
	v_fma_f16 v9, v40, s16, v9
	v_fma_f16 v27, v41, s14, v26
	v_fma_f16 v26, v41, s14, -v26
	v_mul_f16_e32 v40, 0xba0c, v42
	v_mul_f16_e32 v42, 0xb482, v42
	v_add_f16_sdwa v82, v8, v45 dst_sel:DWORD dst_unused:UNUSED_PAD src0_sel:WORD_1 src1_sel:DWORD
	v_sub_f16_e32 v45, v31, v36
	v_fma_f16 v24, v41, s11, v52
	v_fma_f16 v25, v41, s11, -v52
	v_fma_f16 v52, v41, s15, v40
	v_fma_f16 v40, v41, s15, -v40
	;; [unrolled: 2-line block ×3, first 2 shown]
	v_add_f16_e32 v83, v8, v50
	v_add_f16_sdwa v90, v8, v26 dst_sel:DWORD dst_unused:UNUSED_PAD src0_sel:WORD_1 src1_sel:DWORD
	v_add_f16_e32 v93, v8, v10
	v_add_f16_e32 v26, v38, v13
	v_mul_f16_e32 v10, 0xbb47, v45
	v_sub_f16_e32 v50, v30, v35
	v_add_f16_e32 v77, v8, v44
	v_add_f16_sdwa v80, v8, v46 dst_sel:DWORD dst_unused:UNUSED_PAD src0_sel:WORD_1 src1_sel:DWORD
	v_add_f16_e32 v81, v8, v43
	v_add_f16_sdwa v84, v8, v24 dst_sel:DWORD dst_unused:UNUSED_PAD src0_sel:WORD_1 src1_sel:DWORD
	;; [unrolled: 2-line block ×4, first 2 shown]
	v_add_f16_e32 v89, v8, v54
	v_add_f16_e32 v91, v8, v22
	v_add_f16_sdwa v92, v8, v52 dst_sel:DWORD dst_unused:UNUSED_PAD src0_sel:WORD_1 src1_sel:DWORD
	v_add_f16_sdwa v94, v8, v40 dst_sel:DWORD dst_unused:UNUSED_PAD src0_sel:WORD_1 src1_sel:DWORD
	v_add_f16_e32 v95, v8, v23
	v_add_f16_sdwa v96, v8, v55 dst_sel:DWORD dst_unused:UNUSED_PAD src0_sel:WORD_1 src1_sel:DWORD
	v_add_f16_e32 v97, v8, v9
	v_add_f16_sdwa v98, v8, v41 dst_sel:DWORD dst_unused:UNUSED_PAD src0_sel:WORD_1 src1_sel:DWORD
	v_fma_f16 v8, v26, s11, v10
	v_add_f16_e32 v41, v21, v14
	v_mul_f16_e32 v22, 0xba0c, v50
	v_add_f16_e32 v8, v8, v12
	v_fma_f16 v9, v41, s15, v22
	v_mul_f16_e32 v23, 0xbbeb, v45
	v_add_f16_e32 v8, v9, v8
	v_fma_f16 v9, v26, s14, v23
	;; [unrolled: 3-line block ×3, first 2 shown]
	v_sub_f16_e32 v53, v29, v33
	v_add_f16_e32 v9, v25, v9
	v_add_f16_e32 v44, v20, v15
	v_mul_f16_e32 v25, 0x3482, v53
	v_fma_f16 v27, v44, s16, v25
	v_add_f16_e32 v8, v27, v8
	v_mul_f16_e32 v27, 0x3b47, v53
	v_fma_f16 v40, v44, s11, v27
	v_sub_f16_e32 v54, v28, v32
	v_add_f16_e32 v9, v40, v9
	v_add_f16_e32 v47, v17, v18
	v_mul_f16_e32 v40, 0x3beb, v54
	v_fma_f16 v42, v47, s14, v40
	v_add_f16_e32 v8, v42, v8
	v_mul_f16_e32 v42, 0xb853, v54
	v_fma_f16 v43, v47, s10, v42
	v_sub_f16_e32 v55, v34, v37
	v_add_f16_e32 v99, v43, v9
	v_add_f16_e32 v52, v16, v19
	v_mul_f16_e32 v43, 0x3853, v55
	v_fma_f16 v9, v52, s10, v43
	v_mul_f16_e32 v46, 0xba0c, v55
	v_add_f16_e32 v9, v9, v8
	v_fma_f16 v8, v52, s15, v46
	v_add_f16_e32 v56, v56, v39
	v_add_f16_sdwa v39, v57, v39 dst_sel:DWORD dst_unused:UNUSED_PAD src0_sel:DWORD src1_sel:WORD_1
	v_mul_f16_e32 v57, 0xbb47, v58
	v_add_f16_e32 v8, v8, v99
	v_fma_f16 v99, v49, s11, -v57
	v_add_f16_e32 v77, v99, v77
	v_mul_f16_e32 v99, 0xbb47, v51
	v_fma_f16 v100, v48, s11, v99
	v_add_f16_e32 v80, v100, v80
	v_mul_f16_e32 v100, 0xbbeb, v62
	v_fma_f16 v101, v59, s14, -v100
	v_add_f16_e32 v77, v101, v77
	v_mul_f16_e32 v101, 0xbbeb, v61
	v_fma_f16 v102, v60, s14, v101
	v_add_f16_e32 v80, v102, v80
	v_mul_f16_e32 v102, 0xba0c, v66
	;; [unrolled: 6-line block ×3, first 2 shown]
	v_fma_f16 v105, v67, s16, -v104
	v_add_f16_e32 v77, v105, v77
	v_mul_f16_e32 v105, 0xb482, v79
	v_fma_f16 v106, v78, s16, v105
	v_add_f16_e32 v80, v106, v80
	v_pack_b32_f16 v39, v56, v39
	v_mul_lo_u16_e32 v56, 11, v4
	v_pack_b32_f16 v80, v77, v80
	v_lshlrev_b32_e32 v77, 2, v56
	s_barrier
	ds_write2_b32 v77, v39, v80 offset1:1
	v_mul_f16_e32 v39, 0xba0c, v58
	v_fma_f16 v56, v49, s15, -v39
	v_mul_f16_e32 v80, 0xba0c, v51
	v_add_f16_e32 v56, v56, v83
	v_fma_f16 v83, v48, s15, v80
	v_add_f16_e32 v83, v83, v84
	v_mul_f16_e32 v84, 0x3482, v58
	v_fma_f16 v106, v49, s16, -v84
	v_add_f16_e32 v87, v106, v87
	v_mul_f16_e32 v106, 0x3482, v51
	v_fma_f16 v107, v48, s16, v106
	v_add_f16_e32 v88, v107, v88
	v_mul_f16_e32 v107, 0x3482, v62
	v_fma_f16 v108, v59, s16, -v107
	v_add_f16_e32 v56, v108, v56
	v_mul_f16_e32 v108, 0x3482, v61
	;; [unrolled: 6-line block ×7, first 2 shown]
	v_fma_f16 v119, v78, s15, v118
	v_add_f16_e32 v88, v119, v88
	v_pack_b32_f16 v87, v87, v88
	v_pack_b32_f16 v56, v56, v83
	v_fma_f16 v39, v49, s15, v39
	ds_write2_b32 v77, v56, v87 offset0:2 offset1:3
	v_fma_f16 v56, v49, s11, v57
	v_fma_f16 v57, v48, s11, -v99
	v_add_f16_e32 v39, v39, v85
	v_fma_f16 v80, v48, s15, -v80
	v_mul_f16_e32 v85, 0x3beb, v51
	v_mul_f16_e32 v51, 0x3853, v51
	v_add_f16_e32 v56, v56, v81
	v_add_f16_e32 v57, v57, v82
	v_add_f16_e32 v80, v80, v86
	v_fma_f16 v82, v48, s16, -v106
	v_fma_f16 v86, v48, s14, v85
	v_fma_f16 v85, v48, s14, -v85
	v_fma_f16 v88, v48, s10, v51
	;; [unrolled: 2-line block ×3, first 2 shown]
	v_add_f16_e32 v51, v51, v56
	v_fma_f16 v56, v60, s14, -v101
	v_fma_f16 v81, v49, s16, v84
	v_mul_f16_e32 v83, 0x3beb, v58
	v_mul_f16_e32 v58, 0x3853, v58
	v_add_f16_e32 v56, v56, v57
	v_fma_f16 v57, v59, s16, v107
	v_add_f16_e32 v81, v81, v89
	v_fma_f16 v84, v49, s14, -v83
	v_fma_f16 v83, v49, s14, v83
	v_fma_f16 v87, v49, s10, -v58
	v_fma_f16 v49, v49, s10, v58
	v_add_f16_e32 v39, v57, v39
	v_fma_f16 v57, v60, s16, -v108
	v_fma_f16 v58, v59, s11, v109
	v_add_f16_e32 v82, v82, v90
	v_add_f16_e32 v57, v57, v80
	;; [unrolled: 1-line block ×3, first 2 shown]
	v_fma_f16 v80, v60, s11, -v110
	v_mul_f16_e32 v81, 0xb853, v62
	v_add_f16_e32 v84, v84, v91
	v_add_f16_e32 v80, v80, v82
	v_fma_f16 v82, v59, s10, -v81
	v_add_f16_e32 v83, v83, v93
	v_add_f16_e32 v82, v82, v84
	v_mul_f16_e32 v84, 0xb853, v61
	v_fma_f16 v81, v59, s10, v81
	v_mul_f16_e32 v62, 0xba0c, v62
	v_add_f16_e32 v49, v49, v97
	v_fma_f16 v89, v60, s10, v84
	v_add_f16_e32 v81, v81, v83
	v_fma_f16 v83, v60, s10, -v84
	v_fma_f16 v84, v59, s15, -v62
	v_mul_f16_e32 v61, 0xba0c, v61
	v_fma_f16 v59, v59, s15, v62
	v_add_f16_e32 v48, v48, v98
	v_add_f16_e32 v49, v59, v49
	v_fma_f16 v59, v60, s15, -v61
	v_add_f16_e32 v48, v59, v48
	v_fma_f16 v59, v63, s15, v102
	v_add_f16_e32 v85, v85, v94
	v_add_f16_e32 v51, v59, v51
	v_fma_f16 v59, v64, s15, -v103
	v_add_f16_e32 v83, v83, v85
	v_fma_f16 v85, v60, s15, v61
	v_add_f16_e32 v56, v59, v56
	v_fma_f16 v59, v63, s14, v111
	v_mul_f16_e32 v60, 0xb482, v66
	v_add_f16_e32 v39, v59, v39
	v_fma_f16 v59, v64, s14, -v112
	v_fma_f16 v61, v63, s16, -v60
	v_fma_f16 v60, v63, s16, v60
	v_mul_f16_e32 v66, 0x3b47, v66
	v_add_f16_e32 v57, v59, v57
	v_fma_f16 v59, v63, s10, v113
	v_mul_f16_e32 v62, 0xb482, v65
	v_add_f16_e32 v60, v60, v81
	v_fma_f16 v81, v63, s11, -v66
	v_mul_f16_e32 v65, 0x3b47, v65
	v_fma_f16 v63, v63, s11, v66
	v_add_f16_e32 v49, v63, v49
	v_fma_f16 v63, v64, s11, -v65
	v_add_f16_e32 v48, v63, v48
	v_fma_f16 v63, v67, s16, v104
	v_add_f16_e32 v107, v63, v51
	v_fma_f16 v51, v78, s16, -v105
	v_add_f16_e32 v110, v51, v56
	v_fma_f16 v51, v67, s10, v115
	v_add_f16_e32 v56, v51, v39
	v_fma_f16 v39, v78, s10, -v116
	v_add_f16_e32 v58, v59, v58
	v_fma_f16 v59, v64, s10, -v114
	v_add_f16_e32 v57, v39, v57
	v_fma_f16 v39, v67, s15, v117
	v_add_f16_e32 v59, v59, v80
	v_add_f16_e32 v63, v39, v58
	v_fma_f16 v39, v78, s15, -v118
	v_add_f16_e32 v59, v39, v59
	v_mul_f16_e32 v39, 0x3b47, v11
	v_fma_f16 v80, v64, s16, v62
	v_fma_f16 v62, v64, s16, -v62
	v_fma_f16 v51, v67, s11, -v39
	v_mul_f16_e32 v58, 0x3b47, v79
	v_fma_f16 v39, v67, s11, v39
	v_add_f16_e32 v86, v86, v92
	v_add_f16_e32 v87, v87, v95
	;; [unrolled: 1-line block ×6, first 2 shown]
	v_fma_f16 v39, v78, s11, -v58
	v_add_f16_e32 v86, v89, v86
	v_add_f16_e32 v84, v84, v87
	;; [unrolled: 1-line block ×3, first 2 shown]
	v_fma_f16 v82, v64, s11, v65
	v_add_f16_e32 v51, v51, v61
	v_fma_f16 v61, v78, s11, v58
	v_add_f16_e32 v58, v39, v62
	v_mul_f16_e32 v11, 0xbbeb, v11
	v_mul_f16_e32 v62, 0xbbeb, v79
	v_add_f16_e32 v80, v80, v86
	v_add_f16_e32 v81, v81, v84
	;; [unrolled: 1-line block ×3, first 2 shown]
	v_fma_f16 v39, v67, s14, -v11
	v_fma_f16 v64, v78, s14, v62
	v_fma_f16 v11, v67, s14, v11
	v_add_f16_e32 v61, v61, v80
	v_add_f16_e32 v39, v39, v81
	;; [unrolled: 1-line block ×4, first 2 shown]
	v_fma_f16 v49, v78, s14, -v62
	v_add_f16_e32 v48, v49, v48
	v_pack_b32_f16 v39, v39, v64
	v_pack_b32_f16 v49, v51, v61
	v_sub_f16_e32 v94, v13, v38
	v_add_f16_e32 v100, v36, v31
	ds_write2_b32 v77, v49, v39 offset0:4 offset1:5
	v_mul_f16_e32 v39, 0xb853, v45
	v_mul_f16_e32 v51, 0xb853, v94
	v_pack_b32_f16 v49, v60, v58
	v_pack_b32_f16 v11, v11, v48
	v_sub_f16_e32 v96, v14, v21
	v_fma_f16 v58, v26, s10, v39
	v_fma_f16 v48, v100, s10, -v51
	ds_write2_b32 v77, v11, v49 offset0:6 offset1:7
	v_add_f16_e32 v105, v35, v30
	v_pack_b32_f16 v11, v56, v57
	v_pack_b32_f16 v49, v63, v59
	v_mul_f16_e32 v56, 0xbb47, v50
	v_mul_f16_e32 v57, 0xbb47, v96
	v_add_f16_e32 v60, v58, v12
	v_add_f16_sdwa v48, v48, v12 dst_sel:DWORD dst_unused:UNUSED_PAD src0_sel:DWORD src1_sel:WORD_1
	v_mul_f16_e32 v58, 0xbb47, v94
	ds_write2_b32 v77, v49, v11 offset0:8 offset1:9
	v_fma_f16 v11, v41, s11, v56
	v_fma_f16 v49, v105, s11, -v57
	v_add_f16_e32 v11, v11, v60
	v_add_f16_e32 v48, v49, v48
	v_fma_f16 v49, v100, s11, -v58
	v_mul_f16_e32 v60, 0xba0c, v96
	v_add_f16_sdwa v49, v49, v12 dst_sel:DWORD dst_unused:UNUSED_PAD src0_sel:DWORD src1_sel:WORD_1
	v_fma_f16 v59, v105, s15, -v60
	v_mul_f16_e32 v64, 0xbbeb, v94
	v_add_f16_e32 v49, v59, v49
	v_fma_f16 v59, v100, s14, -v64
	v_mul_f16_e32 v66, 0x3482, v96
	v_add_f16_sdwa v59, v59, v12 dst_sel:DWORD dst_unused:UNUSED_PAD src0_sel:DWORD src1_sel:WORD_1
	v_fma_f16 v61, v105, s16, -v66
	v_mul_f16_e32 v85, 0xba0c, v45
	v_add_f16_e32 v62, v61, v59
	v_fma_f16 v59, v26, s15, v85
	v_mul_f16_e32 v86, 0x3beb, v50
	v_add_f16_e32 v59, v59, v12
	v_fma_f16 v61, v41, s14, v86
	v_mul_f16_e32 v89, 0xba0c, v94
	v_add_f16_e32 v63, v61, v59
	v_fma_f16 v59, v100, s15, -v89
	v_mul_f16_e32 v90, 0x3beb, v96
	v_add_f16_sdwa v59, v59, v12 dst_sel:DWORD dst_unused:UNUSED_PAD src0_sel:DWORD src1_sel:WORD_1
	v_fma_f16 v61, v105, s14, -v90
	v_add_f16_e32 v65, v61, v59
	v_mul_f16_e32 v59, 0xbbeb, v53
	v_fma_f16 v61, v44, s14, v59
	v_sub_f16_e32 v101, v15, v20
	v_add_f16_e32 v11, v61, v11
	v_add_f16_e32 v106, v33, v29
	v_mul_f16_e32 v61, 0xbbeb, v101
	v_fma_f16 v67, v106, s14, -v61
	v_add_f16_e32 v48, v67, v48
	v_mul_f16_e32 v67, 0x3482, v101
	v_fma_f16 v78, v106, s16, -v67
	v_mul_f16_e32 v88, 0x3b47, v101
	v_add_f16_e32 v49, v78, v49
	v_fma_f16 v78, v106, s11, -v88
	v_mul_f16_e32 v91, 0xb853, v53
	v_add_f16_e32 v78, v78, v62
	v_fma_f16 v62, v44, s10, v91
	v_mul_f16_e32 v95, 0xb853, v101
	v_add_f16_e32 v79, v62, v63
	v_fma_f16 v62, v106, s10, -v95
	v_add_f16_e32 v65, v62, v65
	v_mul_f16_e32 v62, 0xba0c, v54
	v_fma_f16 v63, v47, s15, v62
	v_sub_f16_e32 v108, v18, v17
	v_add_f16_e32 v11, v63, v11
	v_add_f16_e32 v102, v32, v28
	v_mul_f16_e32 v63, 0xba0c, v108
	v_fma_f16 v80, v102, s15, -v63
	v_mul_f16_e32 v87, 0x3beb, v108
	v_add_f16_e32 v48, v80, v48
	v_fma_f16 v80, v102, s14, -v87
	v_mul_f16_e32 v93, 0xb853, v108
	v_add_f16_e32 v49, v80, v49
	;; [unrolled: 3-line block ×3, first 2 shown]
	v_fma_f16 v80, v47, s16, v97
	v_mul_f16_e32 v99, 0xb482, v108
	v_add_f16_e32 v111, v80, v79
	v_fma_f16 v79, v102, s16, -v99
	v_add_f16_e32 v83, v79, v65
	v_mul_f16_e32 v65, 0xb482, v55
	v_sub_f16_e32 v109, v19, v16
	v_fma_f16 v79, v52, s16, v65
	v_add_f16_e32 v103, v37, v34
	v_mul_f16_e32 v84, 0xb482, v109
	v_add_f16_e32 v79, v79, v11
	v_fma_f16 v11, v103, s16, -v84
	v_mul_f16_e32 v92, 0x3853, v109
	v_add_f16_e32 v80, v11, v48
	v_fma_f16 v11, v103, s10, -v92
	;; [unrolled: 3-line block ×4, first 2 shown]
	v_add_f16_e32 v83, v11, v83
	v_pack_b32_f16 v11, v107, v110
	s_mov_b64 s[8:9], 0x63
	v_mul_f16_e32 v107, 0x3b47, v55
	ds_write_b32 v77, v11 offset:40
	v_fma_f16 v11, v52, s11, v107
	v_lshl_add_u64 v[48:49], v[4:5], 0, s[8:9]
	s_mov_b32 s24, 0xb853
	s_mov_b32 s22, 0xbb47
	;; [unrolled: 1-line block ×5, first 2 shown]
	s_movk_i32 s25, 0x3482
	s_movk_i32 s23, 0x3beb
	;; [unrolled: 1-line block ×4, first 2 shown]
	v_add_f16_e32 v11, v11, v111
	v_mul_u32_u24_e32 v78, 11, v48
	s_and_saveexec_b64 s[8:9], vcc
	s_cbranch_execz .LBB0_7
; %bb.6:
	v_mul_f16_e32 v110, 0x3abb, v100
	v_mul_f16_e32 v112, 0x36a6, v100
	;; [unrolled: 1-line block ×9, first 2 shown]
	v_fma_f16 v129, v94, s25, v100
	v_mul_f16_e32 v105, 0x3abb, v105
	v_add_f16_sdwa v129, v129, v12 dst_sel:DWORD dst_unused:UNUSED_PAD src0_sel:DWORD src1_sel:WORD_1
	v_fma_f16 v130, v96, s24, v105
	v_add_f16_e32 v129, v130, v129
	v_mul_f16_e32 v130, 0xb93d, v106
	s_movk_i32 s24, 0x3a0c
	v_fma_f16 v131, v101, s24, v130
	v_add_f16_e32 v129, v131, v129
	v_mul_f16_e32 v131, 0x36a6, v102
	v_fma_f16 v132, v108, s22, v131
	v_add_f16_e32 v129, v132, v129
	v_mul_f16_e32 v132, 0xb08e, v103
	v_fma_f16 v133, v109, s23, v132
	v_mul_f16_e32 v45, 0xb482, v45
	v_add_f16_e32 v129, v133, v129
	v_fma_f16 v133, v26, s16, v45
	v_mul_f16_e32 v50, 0x3853, v50
	v_add_f16_e32 v133, v133, v12
	v_fma_f16 v134, v41, s10, v50
	v_mul_f16_e32 v53, 0xba0c, v53
	v_fma_f16 v94, v94, s21, v100
	v_add_f16_e32 v133, v134, v133
	v_fma_f16 v134, v44, s15, v53
	v_mul_f16_e32 v54, 0x3b47, v54
	v_fma_f16 v96, v96, s20, v105
	v_add_f16_sdwa v94, v94, v12 dst_sel:DWORD dst_unused:UNUSED_PAD src0_sel:DWORD src1_sel:WORD_1
	v_mul_f16_e32 v49, 0x3abb, v26
	v_mul_f16_e32 v111, 0x36a6, v26
	;; [unrolled: 1-line block ×4, first 2 shown]
	v_add_f16_e32 v133, v134, v133
	v_fma_f16 v134, v47, s11, v54
	v_mul_f16_e32 v55, 0xbbeb, v55
	v_add_f16_e32 v94, v96, v94
	v_fma_f16 v101, v101, s19, v130
	v_fma_f16 v26, v26, s16, -v45
	v_mul_f16_e32 v117, 0x36a6, v41
	v_mul_f16_e32 v119, 0xb93d, v41
	;; [unrolled: 1-line block ×4, first 2 shown]
	v_add_f16_e32 v133, v134, v133
	v_fma_f16 v134, v52, s14, v55
	v_add_f16_e32 v94, v101, v94
	v_fma_f16 v108, v108, s18, v131
	v_fma_f16 v41, v41, s10, -v50
	v_add_f16_e32 v26, v26, v12
	v_mul_f16_e32 v125, 0xb08e, v44
	v_mul_f16_e32 v127, 0xbbad, v44
	v_add_f16_e32 v133, v134, v133
	v_mul_f16_e32 v134, 0x36a6, v44
	v_mul_f16_e32 v105, 0x3abb, v44
	v_add_f16_e32 v94, v108, v94
	v_fma_f16 v109, v109, s17, v132
	v_add_f16_e32 v26, v41, v26
	v_fma_f16 v44, v44, s15, -v53
	v_mul_f16_e32 v96, 0xb93d, v47
	v_mul_f16_e32 v101, 0xb08e, v47
	;; [unrolled: 1-line block ×3, first 2 shown]
	v_add_f16_e32 v94, v109, v94
	v_mul_f16_e32 v109, 0xbbad, v47
	v_add_f16_e32 v26, v44, v26
	v_fma_f16 v47, v47, s11, -v54
	v_mul_f16_e32 v45, 0xbbad, v52
	v_mul_f16_e32 v41, 0x3abb, v52
	v_mul_f16_e32 v44, 0xb93d, v52
	v_add_f16_e32 v26, v47, v26
	v_mul_f16_e32 v47, 0x36a6, v52
	v_fma_f16 v52, v52, s14, -v55
	v_add_f16_e32 v26, v52, v26
	v_add_f16_e32 v52, v89, v116
	v_sub_f16_e32 v10, v111, v10
	v_mul_f16_e32 v126, 0xb08e, v106
	v_mul_f16_e32 v128, 0xbbad, v106
	;; [unrolled: 1-line block ×4, first 2 shown]
	v_add_f16_sdwa v52, v52, v12 dst_sel:DWORD dst_unused:UNUSED_PAD src0_sel:DWORD src1_sel:WORD_1
	v_add_f16_e32 v55, v90, v124
	v_add_f16_e32 v10, v10, v12
	v_sub_f16_e32 v22, v119, v22
	v_mul_f16_e32 v130, 0xb93d, v102
	v_mul_f16_e32 v131, 0xb08e, v102
	;; [unrolled: 1-line block ×4, first 2 shown]
	v_add_f16_e32 v52, v55, v52
	v_add_f16_e32 v55, v95, v106
	;; [unrolled: 1-line block ×3, first 2 shown]
	v_sub_f16_e32 v22, v127, v25
	v_mul_f16_e32 v50, 0xbbad, v103
	v_mul_f16_e32 v53, 0x3abb, v103
	;; [unrolled: 1-line block ×4, first 2 shown]
	v_add_f16_e32 v52, v55, v52
	v_add_f16_e32 v55, v99, v102
	;; [unrolled: 1-line block ×3, first 2 shown]
	v_sub_f16_e32 v22, v101, v40
	v_add_f16_e32 v52, v55, v52
	v_add_f16_e32 v55, v104, v103
	;; [unrolled: 1-line block ×3, first 2 shown]
	v_sub_f16_e32 v22, v41, v43
	v_add_f16_e32 v52, v55, v52
	v_sub_f16_e32 v55, v115, v85
	v_sub_f16_e32 v23, v113, v23
	v_add_f16_e32 v10, v22, v10
	v_add_f16_e32 v22, v51, v110
	;; [unrolled: 1-line block ×3, first 2 shown]
	v_sub_f16_e32 v85, v123, v86
	v_add_f16_e32 v23, v23, v12
	v_sub_f16_e32 v24, v121, v24
	v_add_f16_sdwa v22, v22, v12 dst_sel:DWORD dst_unused:UNUSED_PAD src0_sel:DWORD src1_sel:WORD_1
	v_add_f16_e32 v25, v57, v118
	v_add_f16_e32 v55, v85, v55
	v_sub_f16_e32 v85, v105, v91
	v_add_f16_e32 v23, v24, v23
	v_sub_f16_e32 v24, v134, v27
	v_add_f16_e32 v22, v25, v22
	v_add_f16_e32 v25, v61, v126
	v_add_f16_e32 v55, v85, v55
	v_sub_f16_e32 v85, v109, v97
	v_add_f16_e32 v23, v24, v23
	v_sub_f16_e32 v24, v108, v42
	v_add_f16_e32 v22, v25, v22
	;; [unrolled: 6-line block ×3, first 2 shown]
	v_add_f16_e32 v25, v84, v50
	v_add_f16_e32 v47, v47, v55
	;; [unrolled: 1-line block ×6, first 2 shown]
	v_sub_f16_e32 v25, v49, v39
	v_add_f16_sdwa v55, v55, v12 dst_sel:DWORD dst_unused:UNUSED_PAD src0_sel:DWORD src1_sel:WORD_1
	v_add_f16_sdwa v24, v24, v12 dst_sel:DWORD dst_unused:UNUSED_PAD src0_sel:DWORD src1_sel:WORD_1
	v_add_f16_e32 v25, v25, v12
	v_add_f16_e32 v13, v13, v12
	v_add_f16_sdwa v12, v31, v12 dst_sel:DWORD dst_unused:UNUSED_PAD src0_sel:DWORD src1_sel:WORD_1
	v_add_f16_e32 v27, v60, v120
	v_add_f16_e32 v13, v14, v13
	;; [unrolled: 1-line block ×16, first 2 shown]
	v_sub_f16_e32 v27, v117, v56
	v_add_f16_e32 v13, v16, v13
	v_add_f16_e32 v12, v37, v12
	v_add_f16_e32 v64, v66, v122
	v_add_f16_e32 v25, v27, v25
	v_sub_f16_e32 v27, v125, v59
	v_add_f16_e32 v13, v17, v13
	v_add_f16_e32 v12, v32, v12
	v_add_f16_e32 v55, v64, v55
	v_add_f16_e32 v64, v88, v100
	v_add_f16_e32 v25, v27, v25
	v_sub_f16_e32 v27, v96, v62
	v_add_f16_e32 v13, v20, v13
	;; [unrolled: 6-line block ×3, first 2 shown]
	v_add_f16_e32 v12, v35, v12
	v_add_f16_e32 v55, v64, v55
	v_add_f16_e32 v54, v98, v54
	v_add_f16_e32 v25, v27, v25
	v_add_f16_e32 v13, v38, v13
	v_add_f16_e32 v12, v36, v12
	v_add_f16_e32 v54, v54, v55
	v_lshlrev_b32_e32 v14, 2, v78
	v_pack_b32_f16 v15, v25, v22
	v_pack_b32_f16 v12, v13, v12
	ds_write2_b32 v14, v12, v15 offset1:1
	v_pack_b32_f16 v12, v23, v54
	v_pack_b32_f16 v10, v10, v24
	ds_write2_b32 v14, v10, v12 offset0:2 offset1:3
	v_pack_b32_f16 v10, v47, v52
	v_pack_b32_f16 v12, v26, v94
	s_mov_b32 s10, 0x5040100
	ds_write2_b32 v14, v10, v12 offset0:4 offset1:5
	v_pack_b32_f16 v10, v133, v129
	v_perm_b32 v12, v83, v11, s10
	ds_write2_b32 v14, v10, v12 offset0:6 offset1:7
	v_perm_b32 v10, v81, v9, s10
	v_perm_b32 v12, v82, v8, s10
	ds_write2_b32 v14, v12, v10 offset0:8 offset1:9
	v_perm_b32 v10, v80, v79, s10
	ds_write_b32 v14, v10 offset:40
.LBB0_7:
	s_or_b64 exec, exec, s[8:9]
	s_mov_b64 s[8:9], 0xc6
	v_lshl_add_u64 v[50:51], v[4:5], 0, s[8:9]
	s_movk_i32 s8, 0x75
	v_mul_lo_u16_sdwa v5, v4, s8 dst_sel:DWORD dst_unused:UNUSED_PAD src0_sel:BYTE_0 src1_sel:DWORD
	v_sub_u16_sdwa v10, v4, v5 dst_sel:DWORD dst_unused:UNUSED_PAD src0_sel:DWORD src1_sel:BYTE_1
	v_lshrrev_b16_e32 v10, 1, v10
	v_and_b32_e32 v10, 0x7f, v10
	v_add_u16_sdwa v5, v10, v5 dst_sel:DWORD dst_unused:UNUSED_PAD src0_sel:DWORD src1_sel:BYTE_1
	v_lshrrev_b16_e32 v5, 3, v5
	v_mul_lo_u16_e32 v10, 11, v5
	v_sub_u16_e32 v10, v4, v10
	v_mul_lo_u16_sdwa v14, v48, s8 dst_sel:DWORD dst_unused:UNUSED_PAD src0_sel:BYTE_0 src1_sel:DWORD
	v_and_b32_e32 v41, 0xff, v10
	v_sub_u16_sdwa v12, v48, v14 dst_sel:DWORD dst_unused:UNUSED_PAD src0_sel:DWORD src1_sel:BYTE_1
	v_lshlrev_b32_e32 v10, 3, v41
	v_lshrrev_b16_e32 v15, 1, v12
	s_waitcnt lgkmcnt(0)
	s_barrier
	global_load_dwordx2 v[12:13], v10, s[0:1]
	v_and_b32_e32 v10, 0x7f, v15
	v_add_u16_sdwa v10, v10, v14 dst_sel:DWORD dst_unused:UNUSED_PAD src0_sel:DWORD src1_sel:BYTE_1
	v_lshrrev_b16_e32 v43, 3, v10
	v_mul_lo_u16_e32 v10, 11, v43
	v_sub_u16_e32 v10, v48, v10
	v_and_b32_e32 v46, 0xff, v10
	v_lshlrev_b32_e32 v10, 3, v46
	s_mov_b32 s8, 0xba2f
	global_load_dwordx2 v[14:15], v10, s[0:1]
	v_mul_u32_u24_sdwa v10, v50, s8 dst_sel:DWORD dst_unused:UNUSED_PAD src0_sel:WORD_0 src1_sel:DWORD
	v_lshrrev_b32_e32 v47, 19, v10
	v_mul_lo_u16_e32 v10, 11, v47
	v_sub_u16_e32 v49, v50, v10
	v_lshlrev_b16_e32 v10, 1, v49
	v_lshlrev_b32_e32 v10, 2, v10
	v_add_u32_e32 v40, 0x129, v4
	global_load_dwordx2 v[16:17], v10, s[0:1]
	v_mul_u32_u24_sdwa v10, v40, s8 dst_sel:DWORD dst_unused:UNUSED_PAD src0_sel:WORD_0 src1_sel:DWORD
	v_lshrrev_b32_e32 v51, 19, v10
	v_mul_lo_u16_e32 v10, 11, v51
	v_sub_u16_e32 v52, v40, v10
	v_lshlrev_b16_e32 v10, 1, v52
	v_lshlrev_b32_e32 v10, 2, v10
	v_add_u32_e32 v42, 0x18c, v4
	global_load_dwordx2 v[18:19], v10, s[0:1]
	v_mul_u32_u24_sdwa v10, v42, s8 dst_sel:DWORD dst_unused:UNUSED_PAD src0_sel:WORD_0 src1_sel:DWORD
	v_lshrrev_b32_e32 v54, 19, v10
	v_mul_lo_u16_e32 v10, 11, v54
	v_sub_u16_e32 v55, v42, v10
	v_lshlrev_b16_e32 v10, 1, v55
	v_lshlrev_b32_e32 v10, 2, v10
	global_load_dwordx2 v[20:21], v10, s[0:1]
	v_add_u32_e32 v10, 0x1ef, v4
	v_mul_u32_u24_sdwa v22, v10, s8 dst_sel:DWORD dst_unused:UNUSED_PAD src0_sel:WORD_0 src1_sel:DWORD
	v_lshrrev_b32_e32 v56, 19, v22
	v_mul_lo_u16_e32 v22, 11, v56
	v_sub_u16_e32 v57, v10, v22
	v_lshlrev_b16_e32 v22, 1, v57
	v_lshlrev_b32_e32 v22, 2, v22
	global_load_dwordx2 v[22:23], v22, s[0:1]
	v_add_u32_e32 v58, 0x800, v0
	ds_read2_b32 v[26:27], v58 offset0:82 offset1:181
	v_add_u32_e32 v60, 0x1200, v0
	ds_read2_b32 v[28:29], v60 offset0:36 offset1:135
	;; [unrolled: 2-line block ×3, first 2 shown]
	s_waitcnt lgkmcnt(2)
	v_lshrrev_b32_e32 v66, 16, v26
	v_add_u32_e32 v108, 0x1400, v0
	s_waitcnt lgkmcnt(1)
	v_lshrrev_b32_e32 v67, 16, v28
	v_lshrrev_b32_e32 v85, 16, v27
	ds_read2_b32 v[34:35], v108 offset0:106 offset1:205
	v_lshrrev_b32_e32 v86, 16, v29
	s_waitcnt lgkmcnt(1)
	v_lshrrev_b32_e32 v88, 16, v32
	v_add_u32_e32 v64, 0xe00, v0
	ds_read2_b32 v[38:39], v64 offset0:94 offset1:193
	s_waitcnt lgkmcnt(1)
	v_lshrrev_b32_e32 v89, 16, v34
	v_add_u32_e32 v61, 0x1800, v0
	v_lshrrev_b32_e32 v91, 16, v33
	ds_read2_b32 v[44:45], v61 offset0:48 offset1:147
	v_lshrrev_b32_e32 v92, 16, v35
	s_waitcnt lgkmcnt(1)
	v_lshrrev_b32_e32 v94, 16, v38
	ds_read2_b32 v[24:25], v0 offset1:99
	v_lshrrev_b32_e32 v97, 16, v39
	s_waitcnt lgkmcnt(1)
	v_lshrrev_b32_e32 v95, 16, v44
	v_lshrrev_b32_e32 v98, 16, v45
	v_add_u32_e32 v63, 0x200, v0
	s_waitcnt lgkmcnt(0)
	v_lshrrev_b32_e32 v65, 16, v24
	s_movk_i32 s8, 0x3aee
	s_mov_b32 s9, 0xbaee
	ds_read2_b32 v[30:31], v63 offset0:70 offset1:169
	v_lshrrev_b32_e32 v84, 16, v25
	v_add_u32_e32 v62, 0x400, v0
	ds_read2_b32 v[36:37], v62 offset0:140 offset1:239
	v_mul_u32_u24_e32 v5, 33, v5
	s_waitcnt lgkmcnt(1)
	v_lshrrev_b32_e32 v87, 16, v30
	v_lshrrev_b32_e32 v90, 16, v31
	v_add_lshl_u32 v5, v5, v41, 2
	s_waitcnt lgkmcnt(0)
	v_lshrrev_b32_e32 v93, 16, v36
	v_lshrrev_b32_e32 v96, 16, v37
	s_waitcnt vmcnt(5)
	v_mul_f16_sdwa v99, v66, v12 dst_sel:DWORD dst_unused:UNUSED_PAD src0_sel:DWORD src1_sel:WORD_1
	v_fma_f16 v99, v26, v12, -v99
	v_mul_f16_sdwa v26, v26, v12 dst_sel:DWORD dst_unused:UNUSED_PAD src0_sel:DWORD src1_sel:WORD_1
	v_fma_f16 v26, v66, v12, v26
	v_mul_f16_sdwa v66, v67, v13 dst_sel:DWORD dst_unused:UNUSED_PAD src0_sel:DWORD src1_sel:WORD_1
	v_fma_f16 v66, v28, v13, -v66
	v_mul_f16_sdwa v28, v28, v13 dst_sel:DWORD dst_unused:UNUSED_PAD src0_sel:DWORD src1_sel:WORD_1
	v_fma_f16 v28, v67, v13, v28
	v_add_f16_e32 v100, v99, v66
	s_waitcnt vmcnt(4)
	v_mul_f16_sdwa v67, v85, v14 dst_sel:DWORD dst_unused:UNUSED_PAD src0_sel:DWORD src1_sel:WORD_1
	v_fma_f16 v67, v27, v14, -v67
	v_mul_f16_sdwa v27, v27, v14 dst_sel:DWORD dst_unused:UNUSED_PAD src0_sel:DWORD src1_sel:WORD_1
	v_fma_f16 v27, v85, v14, v27
	v_mul_f16_sdwa v85, v86, v15 dst_sel:DWORD dst_unused:UNUSED_PAD src0_sel:DWORD src1_sel:WORD_1
	v_fma_f16 v85, v29, v15, -v85
	v_mul_f16_sdwa v29, v29, v15 dst_sel:DWORD dst_unused:UNUSED_PAD src0_sel:DWORD src1_sel:WORD_1
	v_fma_f16 v29, v86, v15, v29
	s_waitcnt vmcnt(3)
	v_mul_f16_sdwa v86, v88, v16 dst_sel:DWORD dst_unused:UNUSED_PAD src0_sel:DWORD src1_sel:WORD_1
	v_fma_f16 v86, v32, v16, -v86
	v_mul_f16_sdwa v32, v32, v16 dst_sel:DWORD dst_unused:UNUSED_PAD src0_sel:DWORD src1_sel:WORD_1
	v_fma_f16 v32, v88, v16, v32
	v_mul_f16_sdwa v88, v89, v17 dst_sel:DWORD dst_unused:UNUSED_PAD src0_sel:DWORD src1_sel:WORD_1
	v_fma_f16 v88, v34, v17, -v88
	v_mul_f16_sdwa v34, v34, v17 dst_sel:DWORD dst_unused:UNUSED_PAD src0_sel:DWORD src1_sel:WORD_1
	v_fma_f16 v34, v89, v17, v34
	;; [unrolled: 9-line block ×5, first 2 shown]
	v_add_f16_e32 v98, v24, v99
	v_fma_f16 v24, v100, -0.5, v24
	v_sub_f16_e32 v100, v26, v28
	v_fma_f16 v101, v100, s8, v24
	v_fma_f16 v24, v100, s9, v24
	v_add_f16_e32 v100, v65, v26
	v_add_f16_e32 v26, v26, v28
	;; [unrolled: 1-line block ×4, first 2 shown]
	v_fma_f16 v26, v26, -0.5, v65
	v_sub_f16_e32 v28, v99, v66
	v_add_f16_e32 v66, v67, v85
	v_fma_f16 v65, v28, s9, v26
	v_fma_f16 v26, v28, s8, v26
	v_add_f16_e32 v28, v25, v67
	v_fma_f16 v25, v66, -0.5, v25
	v_sub_f16_e32 v66, v27, v29
	v_fma_f16 v99, v66, s8, v25
	v_fma_f16 v25, v66, s9, v25
	v_add_f16_e32 v66, v84, v27
	v_add_f16_e32 v27, v27, v29
	v_add_f16_e32 v66, v66, v29
	v_fma_f16 v27, v27, -0.5, v84
	v_sub_f16_e32 v29, v67, v85
	v_add_f16_e32 v84, v86, v88
	v_fma_f16 v67, v29, s9, v27
	v_fma_f16 v27, v29, s8, v27
	v_add_f16_e32 v29, v30, v86
	v_fma_f16 v30, v84, -0.5, v30
	v_sub_f16_e32 v84, v32, v34
	v_fma_f16 v102, v84, s8, v30
	v_fma_f16 v30, v84, s9, v30
	v_add_f16_e32 v84, v87, v32
	v_add_f16_e32 v32, v32, v34
	v_add_f16_e32 v103, v84, v34
	;; [unrolled: 13-line block ×3, first 2 shown]
	v_add_f16_e32 v88, v84, v35
	v_fma_f16 v33, v33, -0.5, v90
	v_sub_f16_e32 v35, v89, v91
	v_add_f16_e32 v84, v92, v94
	v_fma_f16 v89, v35, s9, v33
	v_fma_f16 v33, v35, s8, v33
	v_add_f16_e32 v35, v36, v92
	v_fma_f16 v36, v84, -0.5, v36
	v_sub_f16_e32 v84, v38, v44
	v_fma_f16 v90, v84, s8, v36
	v_fma_f16 v36, v84, s9, v36
	v_add_f16_e32 v84, v93, v38
	v_add_f16_e32 v38, v38, v44
	;; [unrolled: 1-line block ×4, first 2 shown]
	v_fma_f16 v38, v38, -0.5, v93
	v_sub_f16_e32 v44, v92, v94
	v_add_f16_e32 v84, v95, v97
	v_fma_f16 v92, v44, s9, v38
	v_fma_f16 v38, v44, s8, v38
	v_add_f16_e32 v44, v37, v95
	v_fma_f16 v37, v84, -0.5, v37
	v_sub_f16_e32 v84, v39, v45
	v_fma_f16 v93, v84, s8, v37
	v_fma_f16 v37, v84, s9, v37
	v_add_f16_e32 v84, v96, v39
	v_add_f16_e32 v39, v39, v45
	v_pack_b32_f16 v24, v24, v26
	v_add_f16_e32 v28, v28, v85
	v_add_f16_e32 v35, v35, v94
	;; [unrolled: 1-line block ×3, first 2 shown]
	v_fma_f16 v39, v39, -0.5, v96
	v_sub_f16_e32 v45, v95, v97
	s_barrier
	ds_write_b32 v5, v24 offset:88
	v_mul_u32_u24_e32 v24, 33, v43
	v_fma_f16 v95, v45, s9, v39
	v_fma_f16 v39, v45, s8, v39
	v_pack_b32_f16 v41, v98, v100
	v_pack_b32_f16 v45, v101, v65
	v_add_lshl_u32 v84, v24, v46, 2
	v_pack_b32_f16 v24, v28, v66
	v_pack_b32_f16 v26, v99, v67
	ds_write2_b32 v5, v41, v45 offset1:11
	ds_write2_b32 v84, v24, v26 offset1:11
	v_pack_b32_f16 v24, v25, v27
	ds_write_b32 v84, v24 offset:88
	v_mad_legacy_u16 v24, v47, 33, v49
	v_lshlrev_b32_e32 v85, 2, v24
	v_pack_b32_f16 v24, v29, v103
	v_pack_b32_f16 v25, v102, v86
	ds_write2_b32 v85, v24, v25 offset1:11
	v_pack_b32_f16 v24, v30, v32
	ds_write_b32 v85, v24 offset:88
	v_mad_legacy_u16 v24, v51, 33, v52
	v_lshlrev_b32_e32 v86, 2, v24
	v_pack_b32_f16 v24, v34, v88
	v_pack_b32_f16 v25, v87, v89
	;; [unrolled: 7-line block ×3, first 2 shown]
	ds_write2_b32 v87, v24, v25 offset1:11
	v_pack_b32_f16 v24, v36, v38
	v_add_f16_e32 v44, v44, v97
	ds_write_b32 v87, v24 offset:88
	v_mad_legacy_u16 v24, v56, 33, v57
	v_lshlrev_b32_e32 v88, 2, v24
	v_pack_b32_f16 v24, v44, v94
	v_pack_b32_f16 v25, v93, v95
	ds_write2_b32 v88, v24, v25 offset1:11
	v_pack_b32_f16 v24, v37, v39
	s_movk_i32 s10, 0xf9
	ds_write_b32 v88, v24 offset:88
	v_mul_lo_u16_sdwa v24, v4, s10 dst_sel:DWORD dst_unused:UNUSED_PAD src0_sel:BYTE_0 src1_sel:DWORD
	v_lshrrev_b16_e32 v41, 13, v24
	v_mul_lo_u16_e32 v24, 33, v41
	v_sub_u16_e32 v24, v4, v24
	v_and_b32_e32 v43, 0xff, v24
	v_mul_lo_u16_sdwa v26, v48, s10 dst_sel:DWORD dst_unused:UNUSED_PAD src0_sel:BYTE_0 src1_sel:DWORD
	v_lshlrev_b32_e32 v24, 3, v43
	v_lshrrev_b16_e32 v49, 13, v26
	s_waitcnt lgkmcnt(0)
	s_barrier
	global_load_dwordx2 v[24:25], v24, s[0:1] offset:88
	v_mul_lo_u16_e32 v26, 33, v49
	v_sub_u16_e32 v26, v48, v26
	s_mov_b32 s10, 0xf83f
	v_and_b32_e32 v51, 0xff, v26
	v_mul_u32_u24_sdwa v28, v50, s10 dst_sel:DWORD dst_unused:UNUSED_PAD src0_sel:WORD_0 src1_sel:DWORD
	v_lshlrev_b32_e32 v26, 3, v51
	global_load_dwordx2 v[26:27], v26, s[0:1] offset:88
	v_lshrrev_b32_e32 v52, 21, v28
	v_mul_lo_u16_e32 v28, 33, v52
	v_mov_b32_e32 v53, 0
	v_sub_u16_e32 v65, v50, v28
	v_lshlrev_b16_e32 v28, 3, v65
	v_mov_b32_e32 v29, v53
	v_mul_u32_u24_sdwa v30, v40, s10 dst_sel:DWORD dst_unused:UNUSED_PAD src0_sel:WORD_0 src1_sel:DWORD
	v_lshl_add_u64 v[28:29], s[0:1], 0, v[28:29]
	global_load_dwordx2 v[28:29], v[28:29], off offset:88
	v_lshrrev_b32_e32 v94, 21, v30
	v_mul_lo_u16_e32 v30, 33, v94
	v_sub_u16_e32 v95, v40, v30
	v_lshlrev_b16_e32 v30, 3, v95
	v_mov_b32_e32 v31, v53
	v_mul_u32_u24_sdwa v32, v42, s10 dst_sel:DWORD dst_unused:UNUSED_PAD src0_sel:WORD_0 src1_sel:DWORD
	v_lshl_add_u64 v[30:31], s[0:1], 0, v[30:31]
	global_load_dwordx2 v[30:31], v[30:31], off offset:88
	v_lshrrev_b32_e32 v96, 21, v32
	v_mul_lo_u16_e32 v32, 33, v96
	v_sub_u16_e32 v97, v42, v32
	v_lshlrev_b16_e32 v32, 3, v97
	v_mov_b32_e32 v33, v53
	v_mul_u32_u24_sdwa v34, v10, s10 dst_sel:DWORD dst_unused:UNUSED_PAD src0_sel:WORD_0 src1_sel:DWORD
	v_lshl_add_u64 v[32:33], s[0:1], 0, v[32:33]
	v_lshrrev_b32_e32 v98, 21, v34
	global_load_dwordx2 v[32:33], v[32:33], off offset:88
	v_mul_lo_u16_e32 v34, 33, v98
	v_sub_u16_e32 v99, v10, v34
	v_lshlrev_b16_e32 v34, 3, v99
	v_mov_b32_e32 v35, v53
	v_lshl_add_u64 v[34:35], s[0:1], 0, v[34:35]
	global_load_dwordx2 v[34:35], v[34:35], off offset:88
	ds_read2_b32 v[36:37], v0 offset1:99
	ds_read2_b32 v[38:39], v58 offset0:82 offset1:181
	ds_read2_b32 v[44:45], v60 offset0:36 offset1:135
	;; [unrolled: 1-line block ×8, first 2 shown]
	s_waitcnt lgkmcnt(8)
	v_lshrrev_b32_e32 v89, 16, v36
	s_waitcnt lgkmcnt(7)
	v_lshrrev_b32_e32 v100, 16, v38
	;; [unrolled: 2-line block ×3, first 2 shown]
	v_lshrrev_b32_e32 v103, 16, v39
	v_lshrrev_b32_e32 v104, 16, v45
	s_waitcnt lgkmcnt(4)
	v_lshrrev_b32_e32 v106, 16, v54
	s_waitcnt lgkmcnt(3)
	v_lshrrev_b32_e32 v107, 16, v56
	v_lshrrev_b32_e32 v110, 16, v55
	;; [unrolled: 1-line block ×3, first 2 shown]
	s_waitcnt lgkmcnt(1)
	v_lshrrev_b32_e32 v113, 16, v90
	s_waitcnt lgkmcnt(0)
	v_lshrrev_b32_e32 v114, 16, v92
	v_lshrrev_b32_e32 v116, 16, v91
	;; [unrolled: 1-line block ×8, first 2 shown]
	v_mul_u32_u24_e32 v41, 0x63, v41
	s_barrier
	s_movk_i32 s10, 0x63
	s_waitcnt vmcnt(5)
	v_mul_f16_sdwa v118, v100, v24 dst_sel:DWORD dst_unused:UNUSED_PAD src0_sel:DWORD src1_sel:WORD_1
	v_fma_f16 v118, v38, v24, -v118
	v_mul_f16_sdwa v38, v38, v24 dst_sel:DWORD dst_unused:UNUSED_PAD src0_sel:DWORD src1_sel:WORD_1
	v_fma_f16 v38, v100, v24, v38
	v_mul_f16_sdwa v100, v101, v25 dst_sel:DWORD dst_unused:UNUSED_PAD src0_sel:DWORD src1_sel:WORD_1
	v_fma_f16 v100, v44, v25, -v100
	v_mul_f16_sdwa v44, v44, v25 dst_sel:DWORD dst_unused:UNUSED_PAD src0_sel:DWORD src1_sel:WORD_1
	v_fma_f16 v44, v101, v25, v44
	s_waitcnt vmcnt(4)
	v_mul_f16_sdwa v101, v103, v26 dst_sel:DWORD dst_unused:UNUSED_PAD src0_sel:DWORD src1_sel:WORD_1
	v_fma_f16 v101, v39, v26, -v101
	v_mul_f16_sdwa v39, v39, v26 dst_sel:DWORD dst_unused:UNUSED_PAD src0_sel:DWORD src1_sel:WORD_1
	v_fma_f16 v39, v103, v26, v39
	v_mul_f16_sdwa v103, v104, v27 dst_sel:DWORD dst_unused:UNUSED_PAD src0_sel:DWORD src1_sel:WORD_1
	v_fma_f16 v103, v45, v27, -v103
	v_mul_f16_sdwa v45, v45, v27 dst_sel:DWORD dst_unused:UNUSED_PAD src0_sel:DWORD src1_sel:WORD_1
	v_fma_f16 v45, v104, v27, v45
	;; [unrolled: 9-line block ×4, first 2 shown]
	v_add_f16_e32 v119, v118, v100
	s_waitcnt vmcnt(1)
	v_mul_f16_sdwa v111, v113, v32 dst_sel:DWORD dst_unused:UNUSED_PAD src0_sel:DWORD src1_sel:WORD_1
	v_fma_f16 v111, v90, v32, -v111
	v_mul_f16_sdwa v90, v90, v32 dst_sel:DWORD dst_unused:UNUSED_PAD src0_sel:DWORD src1_sel:WORD_1
	v_fma_f16 v90, v113, v32, v90
	v_mul_f16_sdwa v113, v114, v33 dst_sel:DWORD dst_unused:UNUSED_PAD src0_sel:DWORD src1_sel:WORD_1
	v_fma_f16 v113, v92, v33, -v113
	v_mul_f16_sdwa v92, v92, v33 dst_sel:DWORD dst_unused:UNUSED_PAD src0_sel:DWORD src1_sel:WORD_1
	v_fma_f16 v92, v114, v33, v92
	s_waitcnt vmcnt(0)
	v_mul_f16_sdwa v114, v116, v34 dst_sel:DWORD dst_unused:UNUSED_PAD src0_sel:DWORD src1_sel:WORD_1
	v_fma_f16 v114, v91, v34, -v114
	v_mul_f16_sdwa v91, v91, v34 dst_sel:DWORD dst_unused:UNUSED_PAD src0_sel:DWORD src1_sel:WORD_1
	v_fma_f16 v91, v116, v34, v91
	v_mul_f16_sdwa v116, v117, v35 dst_sel:DWORD dst_unused:UNUSED_PAD src0_sel:DWORD src1_sel:WORD_1
	v_fma_f16 v116, v93, v35, -v116
	v_mul_f16_sdwa v93, v93, v35 dst_sel:DWORD dst_unused:UNUSED_PAD src0_sel:DWORD src1_sel:WORD_1
	v_fma_f16 v93, v117, v35, v93
	v_add_f16_e32 v117, v36, v118
	v_fma_f16 v36, v119, -0.5, v36
	v_sub_f16_e32 v119, v38, v44
	v_fma_f16 v120, v119, s8, v36
	v_fma_f16 v36, v119, s9, v36
	v_add_f16_e32 v119, v89, v38
	v_add_f16_e32 v38, v38, v44
	;; [unrolled: 1-line block ×3, first 2 shown]
	v_fma_f16 v38, v38, -0.5, v89
	v_sub_f16_e32 v44, v118, v100
	v_add_f16_e32 v89, v101, v103
	v_add_f16_e32 v117, v117, v100
	v_fma_f16 v100, v44, s9, v38
	v_fma_f16 v38, v44, s8, v38
	v_add_f16_e32 v44, v37, v101
	v_fma_f16 v37, v89, -0.5, v37
	v_sub_f16_e32 v89, v39, v45
	v_fma_f16 v118, v89, s8, v37
	v_fma_f16 v37, v89, s9, v37
	v_add_f16_e32 v89, v102, v39
	v_add_f16_e32 v39, v39, v45
	v_add_f16_e32 v121, v89, v45
	v_fma_f16 v39, v39, -0.5, v102
	v_sub_f16_e32 v45, v101, v103
	v_add_f16_e32 v89, v104, v106
	v_fma_f16 v101, v45, s9, v39
	v_fma_f16 v39, v45, s8, v39
	v_add_f16_e32 v45, v46, v104
	v_fma_f16 v46, v89, -0.5, v46
	v_sub_f16_e32 v89, v54, v56
	v_fma_f16 v102, v89, s8, v46
	v_fma_f16 v46, v89, s9, v46
	v_add_f16_e32 v89, v105, v54
	v_add_f16_e32 v54, v54, v56
	v_add_f16_e32 v44, v44, v103
	v_add_f16_e32 v103, v89, v56
	v_fma_f16 v54, v54, -0.5, v105
	v_sub_f16_e32 v56, v104, v106
	v_add_f16_e32 v89, v107, v110
	v_fma_f16 v104, v56, s9, v54
	v_fma_f16 v54, v56, s8, v54
	v_add_f16_e32 v56, v47, v107
	v_fma_f16 v47, v89, -0.5, v47
	v_sub_f16_e32 v89, v55, v57
	v_fma_f16 v105, v89, s8, v47
	v_fma_f16 v47, v89, s9, v47
	v_add_f16_e32 v89, v109, v55
	;; [unrolled: 14-line block ×3, first 2 shown]
	v_add_f16_e32 v56, v56, v110
	v_add_f16_e32 v110, v89, v92
	;; [unrolled: 1-line block ×3, first 2 shown]
	v_fma_f16 v89, v89, -0.5, v112
	v_sub_f16_e32 v90, v111, v113
	v_fma_f16 v111, v90, s9, v89
	v_fma_f16 v112, v90, s8, v89
	v_add_f16_e32 v89, v67, v114
	v_add_f16_e32 v57, v57, v113
	;; [unrolled: 1-line block ×4, first 2 shown]
	v_fma_f16 v67, v89, -0.5, v67
	v_sub_f16_e32 v89, v91, v93
	v_fma_f16 v122, v89, s8, v67
	v_fma_f16 v67, v89, s9, v67
	v_add_f16_e32 v89, v115, v91
	v_add_f16_e32 v123, v89, v93
	;; [unrolled: 1-line block ×3, first 2 shown]
	v_fma_f16 v89, v89, -0.5, v115
	v_sub_f16_e32 v90, v114, v116
	v_fma_f16 v114, v90, s9, v89
	v_fma_f16 v115, v90, s8, v89
	v_add_lshl_u32 v89, v41, v43, 2
	v_pack_b32_f16 v36, v36, v38
	ds_write_b32 v89, v36 offset:264
	v_mul_u32_u24_e32 v36, 0x63, v49
	v_pack_b32_f16 v41, v117, v119
	v_pack_b32_f16 v43, v120, v100
	v_add_lshl_u32 v90, v36, v51, 2
	v_pack_b32_f16 v36, v44, v121
	v_pack_b32_f16 v38, v118, v101
	ds_write2_b32 v89, v41, v43 offset1:33
	ds_write2_b32 v90, v36, v38 offset1:33
	v_pack_b32_f16 v36, v37, v39
	ds_write_b32 v90, v36 offset:264
	v_mad_legacy_u16 v36, v52, s10, v65
	v_lshlrev_b32_e32 v91, 2, v36
	v_pack_b32_f16 v36, v45, v103
	v_pack_b32_f16 v37, v102, v104
	ds_write2_b32 v91, v36, v37 offset1:33
	v_pack_b32_f16 v36, v46, v54
	ds_write_b32 v91, v36 offset:264
	v_mad_legacy_u16 v36, v94, s10, v95
	v_lshlrev_b32_e32 v92, 2, v36
	v_pack_b32_f16 v36, v56, v106
	v_pack_b32_f16 v37, v105, v107
	;; [unrolled: 7-line block ×4, first 2 shown]
	ds_write2_b32 v94, v36, v37 offset1:33
	v_pack_b32_f16 v36, v67, v115
	v_lshlrev_b32_e32 v49, 3, v4
	ds_write_b32 v94, v36 offset:264
	s_waitcnt lgkmcnt(0)
	s_barrier
	global_load_dwordx2 v[36:37], v49, s[0:1] offset:352
	s_mov_b32 s10, 0xa57f
	v_mul_u32_u24_sdwa v38, v50, s10 dst_sel:DWORD dst_unused:UNUSED_PAD src0_sel:WORD_0 src1_sel:DWORD
	v_lshrrev_b32_e32 v38, 22, v38
	v_mul_lo_u16_e32 v38, 0x63, v38
	v_sub_u16_e32 v51, v50, v38
	v_lshlrev_b16_e32 v38, 3, v51
	v_mov_b32_e32 v39, v53
	v_mul_u32_u24_sdwa v41, v40, s10 dst_sel:DWORD dst_unused:UNUSED_PAD src0_sel:WORD_0 src1_sel:DWORD
	v_lshl_add_u64 v[38:39], s[0:1], 0, v[38:39]
	global_load_dwordx2 v[38:39], v[38:39], off offset:352
	v_lshrrev_b32_e32 v41, 22, v41
	v_mul_lo_u16_e32 v41, 0x63, v41
	v_sub_u16_e32 v52, v40, v41
	v_lshlrev_b16_e32 v40, 3, v52
	v_mov_b32_e32 v41, v53
	v_mul_u32_u24_sdwa v43, v42, s10 dst_sel:DWORD dst_unused:UNUSED_PAD src0_sel:WORD_0 src1_sel:DWORD
	v_lshl_add_u64 v[40:41], s[0:1], 0, v[40:41]
	global_load_dwordx2 v[40:41], v[40:41], off offset:352
	;; [unrolled: 8-line block ×3, first 2 shown]
	v_lshrrev_b32_e32 v44, 22, v44
	v_mul_lo_u16_e32 v44, 0x63, v44
	v_sub_u16_e32 v10, v10, v44
	v_lshlrev_b16_e32 v44, 3, v10
	v_mov_b32_e32 v45, v53
	v_lshl_add_u64 v[44:45], s[0:1], 0, v[44:45]
	global_load_dwordx2 v[44:45], v[44:45], off offset:352
	ds_read2_b32 v[46:47], v0 offset1:99
	ds_read2_b32 v[54:55], v58 offset0:82 offset1:181
	ds_read2_b32 v[56:57], v60 offset0:36 offset1:135
	;; [unrolled: 1-line block ×8, first 2 shown]
	s_waitcnt lgkmcnt(8)
	v_lshrrev_b32_e32 v95, 16, v46
	s_waitcnt lgkmcnt(7)
	v_lshrrev_b32_e32 v106, 16, v54
	;; [unrolled: 2-line block ×3, first 2 shown]
	v_lshrrev_b32_e32 v110, 16, v55
	v_lshrrev_b32_e32 v111, 16, v57
	s_waitcnt lgkmcnt(4)
	v_lshrrev_b32_e32 v113, 16, v96
	s_waitcnt lgkmcnt(3)
	v_lshrrev_b32_e32 v114, 16, v98
	v_lshrrev_b32_e32 v116, 16, v97
	;; [unrolled: 1-line block ×3, first 2 shown]
	s_waitcnt lgkmcnt(1)
	v_lshrrev_b32_e32 v119, 16, v102
	s_waitcnt lgkmcnt(0)
	v_lshrrev_b32_e32 v120, 16, v104
	v_lshrrev_b32_e32 v122, 16, v103
	;; [unrolled: 1-line block ×8, first 2 shown]
	s_barrier
	s_movk_i32 s10, 0x1000
	s_waitcnt vmcnt(4)
	v_mul_f16_sdwa v124, v106, v36 dst_sel:DWORD dst_unused:UNUSED_PAD src0_sel:DWORD src1_sel:WORD_1
	v_fma_f16 v124, v54, v36, -v124
	v_mul_f16_sdwa v54, v54, v36 dst_sel:DWORD dst_unused:UNUSED_PAD src0_sel:DWORD src1_sel:WORD_1
	v_fma_f16 v54, v106, v36, v54
	v_mul_f16_sdwa v106, v107, v37 dst_sel:DWORD dst_unused:UNUSED_PAD src0_sel:DWORD src1_sel:WORD_1
	v_fma_f16 v106, v56, v37, -v106
	v_mul_f16_sdwa v56, v56, v37 dst_sel:DWORD dst_unused:UNUSED_PAD src0_sel:DWORD src1_sel:WORD_1
	v_fma_f16 v56, v107, v37, v56
	;; [unrolled: 4-line block ×4, first 2 shown]
	s_waitcnt vmcnt(3)
	v_mul_f16_sdwa v111, v113, v38 dst_sel:DWORD dst_unused:UNUSED_PAD src0_sel:DWORD src1_sel:WORD_1
	v_fma_f16 v111, v96, v38, -v111
	v_mul_f16_sdwa v96, v96, v38 dst_sel:DWORD dst_unused:UNUSED_PAD src0_sel:DWORD src1_sel:WORD_1
	v_fma_f16 v96, v113, v38, v96
	v_mul_f16_sdwa v113, v114, v39 dst_sel:DWORD dst_unused:UNUSED_PAD src0_sel:DWORD src1_sel:WORD_1
	v_fma_f16 v113, v98, v39, -v113
	v_mul_f16_sdwa v98, v98, v39 dst_sel:DWORD dst_unused:UNUSED_PAD src0_sel:DWORD src1_sel:WORD_1
	v_fma_f16 v98, v114, v39, v98
	s_waitcnt vmcnt(2)
	v_mul_f16_sdwa v114, v116, v40 dst_sel:DWORD dst_unused:UNUSED_PAD src0_sel:DWORD src1_sel:WORD_1
	v_fma_f16 v114, v97, v40, -v114
	v_mul_f16_sdwa v97, v97, v40 dst_sel:DWORD dst_unused:UNUSED_PAD src0_sel:DWORD src1_sel:WORD_1
	v_fma_f16 v97, v116, v40, v97
	v_mul_f16_sdwa v116, v117, v41 dst_sel:DWORD dst_unused:UNUSED_PAD src0_sel:DWORD src1_sel:WORD_1
	v_fma_f16 v116, v99, v41, -v116
	v_mul_f16_sdwa v99, v99, v41 dst_sel:DWORD dst_unused:UNUSED_PAD src0_sel:DWORD src1_sel:WORD_1
	v_fma_f16 v99, v117, v41, v99
	;; [unrolled: 9-line block ×3, first 2 shown]
	s_waitcnt vmcnt(0)
	v_mul_f16_sdwa v120, v122, v44 dst_sel:DWORD dst_unused:UNUSED_PAD src0_sel:DWORD src1_sel:WORD_1
	v_fma_f16 v120, v103, v44, -v120
	v_mul_f16_sdwa v103, v103, v44 dst_sel:DWORD dst_unused:UNUSED_PAD src0_sel:DWORD src1_sel:WORD_1
	v_fma_f16 v103, v122, v44, v103
	v_mul_f16_sdwa v122, v123, v45 dst_sel:DWORD dst_unused:UNUSED_PAD src0_sel:DWORD src1_sel:WORD_1
	v_fma_f16 v122, v105, v45, -v122
	v_mul_f16_sdwa v105, v105, v45 dst_sel:DWORD dst_unused:UNUSED_PAD src0_sel:DWORD src1_sel:WORD_1
	v_add_f16_e32 v125, v124, v106
	v_fma_f16 v105, v123, v45, v105
	v_add_f16_e32 v123, v46, v124
	v_fma_f16 v46, v125, -0.5, v46
	v_sub_f16_e32 v125, v54, v56
	v_fma_f16 v126, v125, s8, v46
	v_fma_f16 v46, v125, s9, v46
	v_add_f16_e32 v125, v95, v54
	v_add_f16_e32 v54, v54, v56
	;; [unrolled: 1-line block ×4, first 2 shown]
	v_fma_f16 v54, v54, -0.5, v95
	v_sub_f16_e32 v56, v124, v106
	v_add_f16_e32 v106, v107, v110
	v_fma_f16 v95, v56, s9, v54
	v_fma_f16 v54, v56, s8, v54
	v_add_f16_e32 v56, v47, v107
	v_fma_f16 v47, v106, -0.5, v47
	v_sub_f16_e32 v106, v55, v57
	v_fma_f16 v124, v106, s8, v47
	v_fma_f16 v47, v106, s9, v47
	v_add_f16_e32 v106, v109, v55
	v_add_f16_e32 v55, v55, v57
	v_add_f16_e32 v106, v106, v57
	v_fma_f16 v55, v55, -0.5, v109
	v_sub_f16_e32 v57, v107, v110
	v_add_f16_e32 v109, v111, v113
	v_fma_f16 v107, v57, s9, v55
	v_fma_f16 v55, v57, s8, v55
	v_add_f16_e32 v57, v66, v111
	v_fma_f16 v66, v109, -0.5, v66
	v_sub_f16_e32 v109, v96, v98
	v_add_f16_e32 v56, v56, v110
	v_fma_f16 v110, v109, s8, v66
	v_fma_f16 v66, v109, s9, v66
	v_add_f16_e32 v109, v112, v96
	v_add_f16_e32 v96, v96, v98
	v_add_f16_e32 v109, v109, v98
	v_fma_f16 v96, v96, -0.5, v112
	v_sub_f16_e32 v98, v111, v113
	v_add_f16_e32 v112, v114, v116
	v_fma_f16 v111, v98, s9, v96
	v_fma_f16 v96, v98, s8, v96
	v_add_f16_e32 v98, v67, v114
	v_fma_f16 v67, v112, -0.5, v67
	v_sub_f16_e32 v112, v97, v99
	v_add_f16_e32 v57, v57, v113
	;; [unrolled: 14-line block ×4, first 2 shown]
	v_fma_f16 v119, v118, s8, v101
	v_fma_f16 v101, v118, s9, v101
	v_add_f16_e32 v118, v121, v103
	v_add_f16_e32 v103, v103, v105
	;; [unrolled: 1-line block ×3, first 2 shown]
	v_fma_f16 v103, v103, -0.5, v121
	v_sub_f16_e32 v105, v120, v122
	v_fma_f16 v120, v105, s9, v103
	v_fma_f16 v103, v105, s8, v103
	v_pack_b32_f16 v105, v123, v125
	v_pack_b32_f16 v95, v126, v95
	;; [unrolled: 1-line block ×4, first 2 shown]
	ds_write2_b32 v0, v105, v95 offset1:99
	ds_write2_b32 v63, v46, v54 offset0:70 offset1:169
	v_pack_b32_f16 v46, v124, v107
	v_pack_b32_f16 v47, v47, v55
	v_lshlrev_b32_e32 v95, 2, v51
	ds_write2_b32 v62, v46, v47 offset0:140 offset1:239
	v_pack_b32_f16 v46, v57, v109
	v_pack_b32_f16 v47, v110, v111
	v_add_u32_e32 v51, 0x800, v95
	ds_write2_b32 v51, v46, v47 offset0:82 offset1:181
	v_pack_b32_f16 v46, v66, v96
	v_lshlrev_b32_e32 v96, 2, v52
	ds_write_b32 v95, v46 offset:3168
	v_pack_b32_f16 v46, v98, v112
	v_pack_b32_f16 v47, v113, v114
	v_add_u32_e32 v51, 0xc00, v96
	ds_write2_b32 v51, v46, v47 offset0:123 offset1:222
	v_pack_b32_f16 v46, v67, v97
	v_lshlrev_b32_e32 v97, 2, v65
	ds_write_b32 v96, v46 offset:4356
	v_pack_b32_f16 v46, v99, v115
	v_pack_b32_f16 v47, v116, v117
	v_add_u32_e32 v51, 0x1200, v97
	v_add_f16_e32 v104, v104, v122
	ds_write2_b32 v51, v46, v47 offset0:36 offset1:135
	v_pack_b32_f16 v46, v100, v102
	v_lshlrev_b32_e32 v98, 2, v10
	ds_write_b32 v97, v46 offset:5544
	v_pack_b32_f16 v10, v104, v118
	v_pack_b32_f16 v46, v119, v120
	v_add_u32_e32 v47, 0x1600, v98
	ds_write2_b32 v47, v10, v46 offset0:77 offset1:176
	v_pack_b32_f16 v10, v101, v103
	ds_write_b32 v98, v10 offset:6732
	s_waitcnt lgkmcnt(0)
	s_barrier
	global_load_dwordx2 v[46:47], v49, s[0:1] offset:1144
	v_lshlrev_b32_e32 v10, 3, v48
	global_load_dwordx2 v[48:49], v10, s[0:1] offset:1144
	v_lshlrev_b32_e32 v10, 3, v50
	global_load_dwordx2 v[50:51], v10, s[0:1] offset:1144
	ds_read2_b32 v[54:55], v0 offset1:99
	ds_read2_b32 v[56:57], v58 offset0:82 offset1:181
	ds_read2_b32 v[66:67], v60 offset0:36 offset1:135
	;; [unrolled: 1-line block ×8, first 2 shown]
	s_waitcnt lgkmcnt(8)
	v_lshrrev_b32_e32 v10, 16, v54
	s_waitcnt lgkmcnt(7)
	v_lshrrev_b32_e32 v65, 16, v56
	;; [unrolled: 2-line block ×3, first 2 shown]
	v_lshrrev_b32_e32 v114, 16, v57
	v_lshrrev_b32_e32 v115, 16, v67
	s_waitcnt lgkmcnt(4)
	v_lshrrev_b32_e32 v117, 16, v102
	s_waitcnt lgkmcnt(3)
	v_lshrrev_b32_e32 v118, 16, v104
	v_lshrrev_b32_e32 v120, 16, v103
	;; [unrolled: 1-line block ×3, first 2 shown]
	s_waitcnt lgkmcnt(1)
	v_lshrrev_b32_e32 v123, 16, v110
	s_waitcnt lgkmcnt(0)
	v_lshrrev_b32_e32 v124, 16, v112
	v_lshrrev_b32_e32 v126, 16, v111
	;; [unrolled: 1-line block ×8, first 2 shown]
	s_barrier
	v_lshlrev_b32_e32 v52, 2, v4
	s_waitcnt vmcnt(2)
	v_mul_f16_sdwa v128, v65, v46 dst_sel:DWORD dst_unused:UNUSED_PAD src0_sel:DWORD src1_sel:WORD_1
	v_fma_f16 v128, v56, v46, -v128
	v_mul_f16_sdwa v56, v56, v46 dst_sel:DWORD dst_unused:UNUSED_PAD src0_sel:DWORD src1_sel:WORD_1
	v_fma_f16 v56, v65, v46, v56
	v_mul_f16_sdwa v65, v99, v47 dst_sel:DWORD dst_unused:UNUSED_PAD src0_sel:DWORD src1_sel:WORD_1
	v_fma_f16 v65, v66, v47, -v65
	v_mul_f16_sdwa v66, v66, v47 dst_sel:DWORD dst_unused:UNUSED_PAD src0_sel:DWORD src1_sel:WORD_1
	v_fma_f16 v66, v99, v47, v66
	s_waitcnt vmcnt(1)
	v_mul_f16_sdwa v99, v114, v48 dst_sel:DWORD dst_unused:UNUSED_PAD src0_sel:DWORD src1_sel:WORD_1
	v_fma_f16 v99, v57, v48, -v99
	v_mul_f16_sdwa v57, v57, v48 dst_sel:DWORD dst_unused:UNUSED_PAD src0_sel:DWORD src1_sel:WORD_1
	v_fma_f16 v57, v114, v48, v57
	v_mul_f16_sdwa v114, v115, v49 dst_sel:DWORD dst_unused:UNUSED_PAD src0_sel:DWORD src1_sel:WORD_1
	v_fma_f16 v114, v67, v49, -v114
	v_mul_f16_sdwa v67, v67, v49 dst_sel:DWORD dst_unused:UNUSED_PAD src0_sel:DWORD src1_sel:WORD_1
	v_fma_f16 v67, v115, v49, v67
	;; [unrolled: 9-line block ×3, first 2 shown]
	v_mul_f16_sdwa v118, v120, v46 dst_sel:DWORD dst_unused:UNUSED_PAD src0_sel:DWORD src1_sel:WORD_1
	v_fma_f16 v118, v103, v46, -v118
	v_mul_f16_sdwa v103, v103, v46 dst_sel:DWORD dst_unused:UNUSED_PAD src0_sel:DWORD src1_sel:WORD_1
	v_fma_f16 v103, v120, v46, v103
	v_mul_f16_sdwa v120, v121, v47 dst_sel:DWORD dst_unused:UNUSED_PAD src0_sel:DWORD src1_sel:WORD_1
	v_fma_f16 v120, v105, v47, -v120
	v_mul_f16_sdwa v105, v105, v47 dst_sel:DWORD dst_unused:UNUSED_PAD src0_sel:DWORD src1_sel:WORD_1
	v_fma_f16 v105, v121, v47, v105
	;; [unrolled: 4-line block ×5, first 2 shown]
	v_mul_f16_sdwa v126, v127, v51 dst_sel:DWORD dst_unused:UNUSED_PAD src0_sel:DWORD src1_sel:WORD_1
	v_fma_f16 v126, v113, v51, -v126
	v_mul_f16_sdwa v113, v113, v51 dst_sel:DWORD dst_unused:UNUSED_PAD src0_sel:DWORD src1_sel:WORD_1
	v_add_f16_e32 v129, v128, v65
	v_fma_f16 v113, v127, v51, v113
	v_add_f16_e32 v127, v54, v128
	v_fma_f16 v54, v129, -0.5, v54
	v_sub_f16_e32 v129, v56, v66
	v_fma_f16 v130, v129, s8, v54
	v_fma_f16 v54, v129, s9, v54
	v_add_f16_e32 v129, v10, v56
	v_add_f16_e32 v56, v56, v66
	v_add_f16_e32 v129, v129, v66
	v_fma_f16 v10, v56, -0.5, v10
	v_sub_f16_e32 v56, v128, v65
	v_add_f16_e32 v66, v99, v114
	v_add_f16_e32 v127, v127, v65
	v_fma_f16 v65, v56, s9, v10
	v_fma_f16 v10, v56, s8, v10
	v_add_f16_e32 v56, v55, v99
	v_fma_f16 v55, v66, -0.5, v55
	v_sub_f16_e32 v66, v57, v67
	v_fma_f16 v128, v66, s8, v55
	v_fma_f16 v55, v66, s9, v55
	v_add_f16_e32 v66, v109, v57
	v_add_f16_e32 v57, v57, v67
	v_add_f16_e32 v66, v66, v67
	v_fma_f16 v57, v57, -0.5, v109
	v_sub_f16_e32 v67, v99, v114
	v_add_f16_e32 v109, v115, v117
	v_fma_f16 v99, v67, s9, v57
	v_fma_f16 v57, v67, s8, v57
	v_add_f16_e32 v67, v100, v115
	v_fma_f16 v100, v109, -0.5, v100
	v_sub_f16_e32 v109, v102, v104
	v_add_f16_e32 v56, v56, v114
	v_fma_f16 v114, v109, s8, v100
	v_fma_f16 v100, v109, s9, v100
	v_add_f16_e32 v109, v116, v102
	v_add_f16_e32 v102, v102, v104
	v_add_f16_e32 v109, v109, v104
	v_fma_f16 v102, v102, -0.5, v116
	v_sub_f16_e32 v104, v115, v117
	v_add_f16_e32 v116, v118, v120
	v_fma_f16 v115, v104, s9, v102
	v_fma_f16 v102, v104, s8, v102
	v_add_f16_e32 v104, v101, v118
	v_fma_f16 v101, v116, -0.5, v101
	v_sub_f16_e32 v116, v103, v105
	v_add_f16_e32 v67, v67, v117
	;; [unrolled: 14-line block ×4, first 2 shown]
	v_fma_f16 v123, v122, s8, v107
	v_fma_f16 v107, v122, s9, v107
	v_add_f16_e32 v122, v125, v111
	v_add_f16_e32 v111, v111, v113
	;; [unrolled: 1-line block ×3, first 2 shown]
	v_fma_f16 v111, v111, -0.5, v125
	v_sub_f16_e32 v113, v124, v126
	v_pack_b32_f16 v10, v54, v10
	v_pack_b32_f16 v55, v55, v57
	v_fma_f16 v124, v113, s9, v111
	v_fma_f16 v111, v113, s8, v111
	v_pack_b32_f16 v113, v127, v129
	v_pack_b32_f16 v65, v130, v65
	;; [unrolled: 1-line block ×3, first 2 shown]
	ds_write2_b32 v58, v10, v55 offset0:82 offset1:181
	v_pack_b32_f16 v10, v67, v109
	ds_write2_b32 v0, v113, v54 offset1:99
	v_pack_b32_f16 v54, v128, v99
	ds_write2_b32 v63, v10, v65 offset0:70 offset1:169
	v_pack_b32_f16 v10, v114, v115
	ds_write2_b32 v62, v54, v10 offset0:140 offset1:239
	v_pack_b32_f16 v10, v100, v102
	v_pack_b32_f16 v54, v104, v116
	v_add_f16_e32 v112, v112, v126
	ds_write2_b32 v59, v10, v54 offset0:24 offset1:123
	v_pack_b32_f16 v10, v117, v118
	v_pack_b32_f16 v56, v120, v121
	v_pack_b32_f16 v55, v105, v119
	ds_write2_b32 v60, v10, v56 offset0:36 offset1:135
	v_pack_b32_f16 v56, v112, v122
	v_pack_b32_f16 v54, v101, v103
	ds_write2_b32 v64, v55, v56 offset0:94 offset1:193
	v_pack_b32_f16 v55, v123, v124
	v_pack_b32_f16 v10, v106, v110
	ds_write2_b32 v108, v55, v54 offset0:106 offset1:205
	v_pack_b32_f16 v54, v107, v111
	ds_write2_b32 v61, v10, v54 offset0:48 offset1:147
	s_waitcnt lgkmcnt(0)
	s_barrier
	global_load_dword v99, v52, s[0:1] offset:3520
	global_load_dword v100, v52, s[0:1] offset:3916
	v_lshl_add_u64 v[54:55], s[0:1], 0, v[52:53]
	v_add_co_u32_e64 v54, s[0:1], s10, v54
	v_lshl_add_u64 v[116:117], s[12:13], 0, v[52:53]
	s_nop 0
	v_addc_co_u32_e64 v55, s[0:1], 0, v55, s[0:1]
	global_load_dword v101, v[54:55], off offset:216
	global_load_dword v102, v[54:55], off offset:612
	;; [unrolled: 1-line block ×7, first 2 shown]
	ds_read2_b32 v[54:55], v0 offset1:99
	ds_read2_b32 v[66:67], v59 offset0:24 offset1:123
	ds_read2_b32 v[52:53], v64 offset0:94 offset1:193
	;; [unrolled: 1-line block ×7, first 2 shown]
	s_waitcnt lgkmcnt(6)
	v_lshrrev_b32_e32 v65, 16, v67
	s_waitcnt lgkmcnt(5)
	v_lshrrev_b32_e32 v122, 16, v52
	v_lshrrev_b32_e32 v124, 16, v53
	s_waitcnt lgkmcnt(3)
	v_lshrrev_b32_e32 v126, 16, v110
	v_lshrrev_b32_e32 v128, 16, v111
	ds_read2_b32 v[120:121], v61 offset0:48 offset1:147
	s_waitcnt lgkmcnt(2)
	v_lshrrev_b32_e32 v130, 16, v114
	v_lshrrev_b32_e32 v132, 16, v115
	;; [unrolled: 1-line block ×4, first 2 shown]
	s_waitcnt lgkmcnt(0)
	v_lshrrev_b32_e32 v134, 16, v120
	v_lshrrev_b32_e32 v136, 16, v121
	v_lshrrev_b32_e32 v123, 16, v56
	v_lshrrev_b32_e32 v125, 16, v57
	v_lshrrev_b32_e32 v131, 16, v118
	v_lshrrev_b32_e32 v135, 16, v66
	v_lshrrev_b32_e32 v127, 16, v112
	v_lshrrev_b32_e32 v129, 16, v113
	v_lshrrev_b32_e32 v133, 16, v119
	s_waitcnt vmcnt(8)
	v_mul_f16_sdwa v137, v65, v99 dst_sel:DWORD dst_unused:UNUSED_PAD src0_sel:DWORD src1_sel:WORD_1
	v_fma_f16 v137, v67, v99, -v137
	v_mul_f16_sdwa v67, v67, v99 dst_sel:DWORD dst_unused:UNUSED_PAD src0_sel:DWORD src1_sel:WORD_1
	v_fma_f16 v65, v65, v99, v67
	s_waitcnt vmcnt(7)
	v_mul_f16_sdwa v67, v122, v100 dst_sel:DWORD dst_unused:UNUSED_PAD src0_sel:DWORD src1_sel:WORD_1
	v_fma_f16 v67, v52, v100, -v67
	v_mul_f16_sdwa v52, v52, v100 dst_sel:DWORD dst_unused:UNUSED_PAD src0_sel:DWORD src1_sel:WORD_1
	v_fma_f16 v52, v122, v100, v52
	;; [unrolled: 5-line block ×9, first 2 shown]
	v_sub_f16_e32 v136, v54, v137
	v_sub_f16_e32 v65, v10, v65
	;; [unrolled: 1-line block ×4, first 2 shown]
	v_fma_f16 v137, v54, 2.0, -v136
	v_fma_f16 v138, v10, 2.0, -v65
	;; [unrolled: 1-line block ×4, first 2 shown]
	v_sub_f16_e32 v124, v57, v124
	v_sub_f16_e32 v54, v118, v130
	;; [unrolled: 1-line block ×6, first 2 shown]
	v_fma_f16 v145, v57, 2.0, -v124
	v_fma_f16 v53, v118, 2.0, -v54
	;; [unrolled: 1-line block ×3, first 2 shown]
	v_pack_b32_f16 v66, v137, v138
	v_pack_b32_f16 v118, v140, v141
	v_fma_f16 v143, v56, 2.0, -v122
	v_fma_f16 v123, v123, 2.0, -v142
	;; [unrolled: 1-line block ×3, first 2 shown]
	ds_write2_b32 v0, v66, v118 offset1:99
	v_pack_b32_f16 v66, v67, v139
	v_pack_b32_f16 v118, v122, v142
	v_sub_f16_e32 v126, v112, v126
	v_sub_f16_e32 v146, v127, v111
	;; [unrolled: 1-line block ×4, first 2 shown]
	v_pack_b32_f16 v67, v143, v123
	ds_write2_b32 v64, v66, v118 offset0:94 offset1:193
	v_pack_b32_f16 v66, v145, v125
	v_fma_f16 v147, v112, 2.0, -v126
	v_fma_f16 v127, v127, 2.0, -v146
	;; [unrolled: 1-line block ×4, first 2 shown]
	ds_write2_b32 v63, v67, v66 offset0:70 offset1:169
	v_pack_b32_f16 v63, v124, v144
	v_pack_b32_f16 v67, v126, v146
	v_sub_f16_e32 v110, v131, v115
	v_sub_f16_e32 v56, v119, v132
	;; [unrolled: 1-line block ×3, first 2 shown]
	v_pack_b32_f16 v66, v147, v127
	ds_write2_b32 v60, v63, v67 offset0:36 offset1:135
	v_pack_b32_f16 v60, v128, v129
	v_fma_f16 v111, v131, 2.0, -v110
	v_fma_f16 v55, v119, 2.0, -v56
	;; [unrolled: 1-line block ×3, first 2 shown]
	v_sub_f16_e32 v115, v135, v121
	ds_write2_b32 v62, v66, v60 offset0:140 offset1:239
	v_pack_b32_f16 v60, v52, v109
	v_pack_b32_f16 v66, v54, v110
	v_fma_f16 v114, v135, 2.0, -v115
	v_pack_b32_f16 v63, v53, v111
	ds_write2_b32 v108, v60, v66 offset0:106 offset1:205
	v_pack_b32_f16 v60, v55, v113
	v_pack_b32_f16 v65, v136, v65
	ds_write2_b32 v58, v63, v60 offset0:82 offset1:181
	v_pack_b32_f16 v60, v57, v114
	v_pack_b32_f16 v58, v56, v112
	ds_write2_b32 v59, v60, v65 offset0:24 offset1:123
	v_pack_b32_f16 v59, v10, v115
	ds_write2_b32 v61, v58, v59 offset0:48 offset1:147
	v_add_co_u32_e64 v58, s[0:1], s10, v116
	s_waitcnt lgkmcnt(0)
	s_nop 0
	v_addc_co_u32_e64 v59, s[0:1], 0, v117, s[0:1]
	s_barrier
	global_load_dword v63, v[58:59], off offset:3032
	s_mov_b64 s[0:1], 0x1bd8
	v_lshl_add_u64 v[58:59], v[116:117], 0, s[0:1]
	global_load_dword v65, v[58:59], off offset:648
	global_load_dword v118, v[58:59], off offset:1296
	;; [unrolled: 1-line block ×5, first 2 shown]
	s_movk_i32 s0, 0x2000
	v_add_co_u32_e64 v60, s[0:1], s0, v116
	s_nop 1
	v_addc_co_u32_e64 v61, s[0:1], 0, v117, s[0:1]
	global_load_dword v122, v[60:61], off offset:3472
	global_load_dword v123, v[58:59], off offset:3888
	s_movk_i32 s0, 0x3000
	v_add_co_u32_e64 v60, s[0:1], s0, v116
	s_nop 1
	v_addc_co_u32_e64 v61, s[0:1], 0, v117, s[0:1]
	global_load_dword v116, v[60:61], off offset:24
	global_load_dword v117, v[60:61], off offset:672
	;; [unrolled: 1-line block ×3, first 2 shown]
	ds_read2_b32 v[66:67], v0 offset1:162
	s_waitcnt lgkmcnt(0)
	v_lshrrev_b32_e32 v60, 16, v66
	s_waitcnt vmcnt(10)
	v_mul_f16_sdwa v61, v60, v63 dst_sel:DWORD dst_unused:UNUSED_PAD src0_sel:DWORD src1_sel:WORD_1
	v_fma_f16 v61, v66, v63, -v61
	v_mul_f16_sdwa v66, v66, v63 dst_sel:DWORD dst_unused:UNUSED_PAD src0_sel:DWORD src1_sel:WORD_1
	v_fma_f16 v60, v60, v63, v66
	v_pack_b32_f16 v60, v61, v60
	v_lshrrev_b32_e32 v61, 16, v67
	s_waitcnt vmcnt(9)
	v_mul_f16_sdwa v63, v61, v65 dst_sel:DWORD dst_unused:UNUSED_PAD src0_sel:DWORD src1_sel:WORD_1
	v_mul_f16_sdwa v66, v67, v65 dst_sel:DWORD dst_unused:UNUSED_PAD src0_sel:DWORD src1_sel:WORD_1
	v_fma_f16 v63, v67, v65, -v63
	v_fma_f16 v61, v61, v65, v66
	v_pack_b32_f16 v61, v63, v61
	ds_write2_b32 v0, v60, v61 offset1:162
	ds_read2_b32 v[60:61], v62 offset0:68 offset1:230
	s_waitcnt lgkmcnt(0)
	v_lshrrev_b32_e32 v63, 16, v60
	s_waitcnt vmcnt(8)
	v_mul_f16_sdwa v65, v63, v118 dst_sel:DWORD dst_unused:UNUSED_PAD src0_sel:DWORD src1_sel:WORD_1
	v_fma_f16 v65, v60, v118, -v65
	v_mul_f16_sdwa v60, v60, v118 dst_sel:DWORD dst_unused:UNUSED_PAD src0_sel:DWORD src1_sel:WORD_1
	v_fma_f16 v60, v63, v118, v60
	v_pack_b32_f16 v60, v65, v60
	v_lshrrev_b32_e32 v65, 16, v61
	s_waitcnt vmcnt(7)
	v_mul_f16_sdwa v63, v65, v119 dst_sel:DWORD dst_unused:UNUSED_PAD src0_sel:DWORD src1_sel:WORD_1
	v_fma_f16 v118, v61, v119, -v63
	v_add_u32_e32 v63, 0xa00, v0
	ds_read2_b32 v[66:67], v63 offset0:8 offset1:170
	v_mul_f16_sdwa v61, v61, v119 dst_sel:DWORD dst_unused:UNUSED_PAD src0_sel:DWORD src1_sel:WORD_1
	v_fma_f16 v61, v65, v119, v61
	v_pack_b32_f16 v61, v118, v61
	ds_write2_b32 v62, v60, v61 offset0:68 offset1:230
	s_waitcnt lgkmcnt(1)
	v_lshrrev_b32_e32 v60, 16, v66
	s_waitcnt vmcnt(6)
	v_mul_f16_sdwa v61, v60, v120 dst_sel:DWORD dst_unused:UNUSED_PAD src0_sel:DWORD src1_sel:WORD_1
	v_mul_f16_sdwa v65, v66, v120 dst_sel:DWORD dst_unused:UNUSED_PAD src0_sel:DWORD src1_sel:WORD_1
	v_fma_f16 v61, v66, v120, -v61
	v_fma_f16 v60, v60, v120, v65
	v_lshrrev_b32_e32 v66, 16, v67
	v_pack_b32_f16 v65, v61, v60
	s_waitcnt vmcnt(5)
	v_mul_f16_sdwa v60, v66, v121 dst_sel:DWORD dst_unused:UNUSED_PAD src0_sel:DWORD src1_sel:WORD_1
	v_fma_f16 v118, v67, v121, -v60
	ds_read2_b32 v[60:61], v64 offset0:76 offset1:238
	v_mul_f16_sdwa v67, v67, v121 dst_sel:DWORD dst_unused:UNUSED_PAD src0_sel:DWORD src1_sel:WORD_1
	v_fma_f16 v66, v66, v121, v67
	v_pack_b32_f16 v66, v118, v66
	ds_write2_b32 v63, v65, v66 offset0:8 offset1:170
	s_waitcnt lgkmcnt(1)
	v_lshrrev_b32_e32 v65, 16, v60
	s_waitcnt vmcnt(3)
	v_mul_f16_sdwa v66, v65, v123 dst_sel:DWORD dst_unused:UNUSED_PAD src0_sel:DWORD src1_sel:WORD_1
	v_fma_f16 v66, v60, v123, -v66
	v_mul_f16_sdwa v60, v60, v123 dst_sel:DWORD dst_unused:UNUSED_PAD src0_sel:DWORD src1_sel:WORD_1
	v_fma_f16 v60, v65, v123, v60
	v_lshrrev_b32_e32 v65, 16, v61
	v_pack_b32_f16 v60, v66, v60
	v_mul_f16_sdwa v66, v65, v122 dst_sel:DWORD dst_unused:UNUSED_PAD src0_sel:DWORD src1_sel:WORD_1
	v_fma_f16 v118, v61, v122, -v66
	ds_read2_b32 v[66:67], v108 offset0:16 offset1:178
	v_mul_f16_sdwa v61, v61, v122 dst_sel:DWORD dst_unused:UNUSED_PAD src0_sel:DWORD src1_sel:WORD_1
	v_fma_f16 v61, v65, v122, v61
	v_pack_b32_f16 v61, v118, v61
	ds_write2_b32 v64, v60, v61 offset0:76 offset1:238
	s_waitcnt lgkmcnt(1)
	v_lshrrev_b32_e32 v60, 16, v66
	s_waitcnt vmcnt(2)
	v_mul_f16_sdwa v61, v60, v116 dst_sel:DWORD dst_unused:UNUSED_PAD src0_sel:DWORD src1_sel:WORD_1
	v_mul_f16_sdwa v65, v66, v116 dst_sel:DWORD dst_unused:UNUSED_PAD src0_sel:DWORD src1_sel:WORD_1
	v_fma_f16 v61, v66, v116, -v61
	v_fma_f16 v60, v60, v116, v65
	v_pack_b32_f16 v60, v61, v60
	v_lshrrev_b32_e32 v61, 16, v67
	ds_read_b32 v66, v0 offset:6480
	s_waitcnt vmcnt(1)
	v_mul_f16_sdwa v65, v61, v117 dst_sel:DWORD dst_unused:UNUSED_PAD src0_sel:DWORD src1_sel:WORD_1
	v_fma_f16 v65, v67, v117, -v65
	v_mul_f16_sdwa v67, v67, v117 dst_sel:DWORD dst_unused:UNUSED_PAD src0_sel:DWORD src1_sel:WORD_1
	v_fma_f16 v61, v61, v117, v67
	v_pack_b32_f16 v61, v65, v61
	ds_write2_b32 v108, v60, v61 offset0:16 offset1:178
	s_waitcnt lgkmcnt(1)
	v_lshrrev_b32_e32 v60, 16, v66
	s_waitcnt vmcnt(0)
	v_mul_f16_sdwa v61, v60, v124 dst_sel:DWORD dst_unused:UNUSED_PAD src0_sel:DWORD src1_sel:WORD_1
	v_mul_f16_sdwa v65, v66, v124 dst_sel:DWORD dst_unused:UNUSED_PAD src0_sel:DWORD src1_sel:WORD_1
	v_fma_f16 v61, v66, v124, -v61
	v_fma_f16 v60, v60, v124, v65
	v_pack_b32_f16 v60, v61, v60
	ds_write_b32 v0, v60 offset:6480
	s_and_saveexec_b64 s[8:9], vcc
	s_cbranch_execz .LBB0_9
; %bb.8:
	global_load_dword v60, v[58:59], off offset:396
	global_load_dword v61, v[58:59], off offset:1044
	;; [unrolled: 1-line block ×6, first 2 shown]
	v_add_co_u32_e64 v58, s[0:1], s10, v58
	v_add_u32_e32 v66, 0x100, v0
	s_nop 0
	v_addc_co_u32_e64 v59, s[0:1], 0, v59, s[0:1]
	global_load_dword v121, v[58:59], off offset:188
	global_load_dword v122, v[58:59], off offset:836
	;; [unrolled: 1-line block ×5, first 2 shown]
	ds_read2_b32 v[58:59], v66 offset0:35 offset1:197
	v_add_u32_e32 v126, 0x600, v0
	v_add_u32_e32 v127, 0xb00, v0
	;; [unrolled: 1-line block ×4, first 2 shown]
	s_waitcnt lgkmcnt(0)
	v_lshrrev_b32_e32 v67, 16, v58
	v_lshrrev_b32_e32 v116, 16, v59
	s_waitcnt vmcnt(10)
	v_mul_f16_sdwa v117, v67, v60 dst_sel:DWORD dst_unused:UNUSED_PAD src0_sel:DWORD src1_sel:WORD_1
	v_mul_f16_sdwa v130, v58, v60 dst_sel:DWORD dst_unused:UNUSED_PAD src0_sel:DWORD src1_sel:WORD_1
	s_waitcnt vmcnt(9)
	v_mul_f16_sdwa v131, v116, v61 dst_sel:DWORD dst_unused:UNUSED_PAD src0_sel:DWORD src1_sel:WORD_1
	v_mul_f16_sdwa v132, v59, v61 dst_sel:DWORD dst_unused:UNUSED_PAD src0_sel:DWORD src1_sel:WORD_1
	v_fma_f16 v58, v58, v60, -v117
	v_fma_f16 v60, v67, v60, v130
	v_fma_f16 v59, v59, v61, -v131
	v_fma_f16 v61, v116, v61, v132
	v_pack_b32_f16 v58, v58, v60
	v_pack_b32_f16 v59, v59, v61
	ds_write2_b32 v66, v58, v59 offset0:35 offset1:197
	ds_read2_b32 v[58:59], v126 offset0:39 offset1:201
	ds_read2_b32 v[60:61], v127 offset0:43 offset1:205
	;; [unrolled: 1-line block ×4, first 2 shown]
	ds_read_b32 v130, v0 offset:6876
	s_waitcnt lgkmcnt(4)
	v_lshrrev_b32_e32 v131, 16, v58
	s_waitcnt vmcnt(8)
	v_mul_f16_sdwa v132, v58, v65 dst_sel:DWORD dst_unused:UNUSED_PAD src0_sel:DWORD src1_sel:WORD_1
	v_lshrrev_b32_e32 v133, 16, v59
	s_waitcnt vmcnt(7)
	v_mul_f16_sdwa v134, v59, v118 dst_sel:DWORD dst_unused:UNUSED_PAD src0_sel:DWORD src1_sel:WORD_1
	s_waitcnt lgkmcnt(3)
	v_lshrrev_b32_e32 v135, 16, v60
	s_waitcnt vmcnt(6)
	v_mul_f16_sdwa v136, v60, v119 dst_sel:DWORD dst_unused:UNUSED_PAD src0_sel:DWORD src1_sel:WORD_1
	v_lshrrev_b32_e32 v137, 16, v61
	s_waitcnt vmcnt(5)
	v_mul_f16_sdwa v138, v61, v120 dst_sel:DWORD dst_unused:UNUSED_PAD src0_sel:DWORD src1_sel:WORD_1
	;; [unrolled: 7-line block ×3, first 2 shown]
	s_waitcnt lgkmcnt(1)
	v_lshrrev_b32_e32 v143, 16, v116
	s_waitcnt vmcnt(2)
	v_mul_f16_sdwa v144, v116, v123 dst_sel:DWORD dst_unused:UNUSED_PAD src0_sel:DWORD src1_sel:WORD_1
	v_lshrrev_b32_e32 v145, 16, v117
	v_mul_f16_sdwa v148, v131, v65 dst_sel:DWORD dst_unused:UNUSED_PAD src0_sel:DWORD src1_sel:WORD_1
	v_fma_f16 v131, v131, v65, v132
	v_mul_f16_sdwa v132, v133, v118 dst_sel:DWORD dst_unused:UNUSED_PAD src0_sel:DWORD src1_sel:WORD_1
	s_waitcnt vmcnt(1)
	v_mul_f16_sdwa v146, v117, v124 dst_sel:DWORD dst_unused:UNUSED_PAD src0_sel:DWORD src1_sel:WORD_1
	v_fma_f16 v133, v133, v118, v134
	v_mul_f16_sdwa v134, v135, v119 dst_sel:DWORD dst_unused:UNUSED_PAD src0_sel:DWORD src1_sel:WORD_1
	v_fma_f16 v135, v135, v119, v136
	v_mul_f16_sdwa v136, v137, v120 dst_sel:DWORD dst_unused:UNUSED_PAD src0_sel:DWORD src1_sel:WORD_1
	v_fma_f16 v137, v137, v120, v138
	v_mul_f16_sdwa v138, v139, v121 dst_sel:DWORD dst_unused:UNUSED_PAD src0_sel:DWORD src1_sel:WORD_1
	v_fma_f16 v139, v139, v121, v140
	v_mul_f16_sdwa v140, v141, v122 dst_sel:DWORD dst_unused:UNUSED_PAD src0_sel:DWORD src1_sel:WORD_1
	v_fma_f16 v141, v141, v122, v142
	v_mul_f16_sdwa v142, v143, v123 dst_sel:DWORD dst_unused:UNUSED_PAD src0_sel:DWORD src1_sel:WORD_1
	v_fma_f16 v143, v143, v123, v144
	v_mul_f16_sdwa v144, v145, v124 dst_sel:DWORD dst_unused:UNUSED_PAD src0_sel:DWORD src1_sel:WORD_1
	v_fma_f16 v58, v58, v65, -v148
	v_fma_f16 v59, v59, v118, -v132
	s_waitcnt lgkmcnt(0)
	v_lshrrev_b32_e32 v147, 16, v130
	v_fma_f16 v145, v145, v124, v146
	v_fma_f16 v60, v60, v119, -v134
	v_fma_f16 v61, v61, v120, -v136
	;; [unrolled: 1-line block ×6, first 2 shown]
	v_pack_b32_f16 v58, v58, v131
	v_pack_b32_f16 v59, v59, v133
	s_waitcnt vmcnt(0)
	v_mul_f16_sdwa v146, v147, v125 dst_sel:DWORD dst_unused:UNUSED_PAD src0_sel:DWORD src1_sel:WORD_1
	v_pack_b32_f16 v60, v60, v135
	v_pack_b32_f16 v61, v61, v137
	;; [unrolled: 1-line block ×6, first 2 shown]
	ds_write2_b32 v126, v58, v59 offset0:39 offset1:201
	ds_write2_b32 v127, v60, v61 offset0:43 offset1:205
	;; [unrolled: 1-line block ×4, first 2 shown]
	v_mul_f16_sdwa v58, v130, v125 dst_sel:DWORD dst_unused:UNUSED_PAD src0_sel:DWORD src1_sel:WORD_1
	v_fma_f16 v117, v130, v125, -v146
	v_fma_f16 v58, v147, v125, v58
	v_pack_b32_f16 v58, v117, v58
	ds_write_b32 v0, v58 offset:6876
.LBB0_9:
	s_or_b64 exec, exec, s[8:9]
	s_waitcnt lgkmcnt(0)
	s_barrier
	ds_read2_b32 v[60:61], v0 offset1:162
	ds_read2_b32 v[66:67], v62 offset0:68 offset1:230
	ds_read2_b32 v[62:63], v63 offset0:8 offset1:170
	;; [unrolled: 1-line block ×4, first 2 shown]
	ds_read_b32 v108, v0 offset:6480
	s_and_saveexec_b64 s[0:1], vcc
	s_cbranch_execz .LBB0_11
; %bb.10:
	v_add_u32_e32 v8, 0x100, v0
	ds_read2_b32 v[52:53], v8 offset0:35 offset1:197
	v_add_u32_e32 v8, 0x600, v0
	ds_read2_b32 v[54:55], v8 offset0:39 offset1:201
	;; [unrolled: 2-line block ×5, first 2 shown]
	ds_read_b32 v79, v0 offset:6876
	s_waitcnt lgkmcnt(5)
	v_lshrrev_b32_e32 v109, 16, v52
	v_lshrrev_b32_e32 v111, 16, v53
	s_waitcnt lgkmcnt(4)
	v_lshrrev_b32_e32 v110, 16, v54
	v_lshrrev_b32_e32 v113, 16, v55
	;; [unrolled: 3-line block ×5, first 2 shown]
	s_waitcnt lgkmcnt(0)
	v_lshrrev_b32_e32 v80, 16, v79
.LBB0_11:
	s_or_b64 exec, exec, s[0:1]
	s_waitcnt lgkmcnt(5)
	v_pk_add_f16 v116, v60, v61
	s_waitcnt lgkmcnt(0)
	v_pk_add_f16 v117, v108, v61
	v_pk_add_f16 v61, v61, v108 neg_lo:[0,1] neg_hi:[0,1]
	s_mov_b32 s9, 0xbbeb
	v_pk_add_f16 v116, v116, v66
	v_mul_f16_sdwa v118, v61, s9 dst_sel:DWORD dst_unused:UNUSED_PAD src0_sel:WORD_1 src1_sel:DWORD
	s_mov_b32 s8, 0xb08e
	v_pk_add_f16 v126, v59, v66
	v_pk_add_f16 v66, v66, v59 neg_lo:[0,1] neg_hi:[0,1]
	s_movk_i32 s17, 0x3482
	v_fma_f16 v119, v117, s8, v118
	v_mul_f16_sdwa v127, v66, s17 dst_sel:DWORD dst_unused:UNUSED_PAD src0_sel:WORD_1 src1_sel:DWORD
	s_mov_b32 s12, 0xbbad
	v_add_f16_e32 v119, v60, v119
	v_mul_f16_sdwa v120, v117, s8 dst_sel:DWORD dst_unused:UNUSED_PAD src0_sel:WORD_1 src1_sel:DWORD
	s_movk_i32 s13, 0x3beb
	v_fma_f16 v118, v117, s8, -v118
	v_fma_f16 v128, v126, s12, v127
	v_fma_f16 v121, v61, s13, v120
	v_add_f16_e32 v118, v60, v118
	v_fma_f16 v120, v61, s9, v120
	s_mov_b32 s11, 0xba0c
	v_add_f16_e32 v119, v128, v119
	v_mul_f16_sdwa v128, v126, s12 dst_sel:DWORD dst_unused:UNUSED_PAD src0_sel:WORD_1 src1_sel:DWORD
	v_fma_f16 v127, v126, s12, -v127
	v_add_f16_sdwa v120, v60, v120 dst_sel:DWORD dst_unused:UNUSED_PAD src0_sel:WORD_1 src1_sel:DWORD
	v_mul_f16_sdwa v122, v61, s11 dst_sel:DWORD dst_unused:UNUSED_PAD src0_sel:WORD_1 src1_sel:DWORD
	s_mov_b32 s10, 0xb93d
	v_add_f16_e32 v118, v127, v118
	v_fma_f16 v127, v66, s17, v128
	v_fma_f16 v123, v117, s10, v122
	s_mov_b32 s15, 0xb482
	v_add_f16_e32 v120, v127, v120
	v_mul_f16_sdwa v127, v66, s13 dst_sel:DWORD dst_unused:UNUSED_PAD src0_sel:WORD_1 src1_sel:DWORD
	v_add_f16_e32 v123, v60, v123
	v_mul_f16_sdwa v124, v117, s10 dst_sel:DWORD dst_unused:UNUSED_PAD src0_sel:WORD_1 src1_sel:DWORD
	s_movk_i32 s23, 0x3a0c
	v_fma_f16 v122, v117, s10, -v122
	v_fma_f16 v129, v66, s15, v128
	v_fma_f16 v128, v126, s8, v127
	;; [unrolled: 1-line block ×3, first 2 shown]
	v_add_f16_e32 v122, v60, v122
	v_fma_f16 v124, v61, s11, v124
	v_add_f16_e32 v123, v128, v123
	v_mul_f16_sdwa v128, v126, s8 dst_sel:DWORD dst_unused:UNUSED_PAD src0_sel:WORD_1 src1_sel:DWORD
	v_fma_f16 v127, v126, s8, -v127
	v_add_f16_sdwa v124, v60, v124 dst_sel:DWORD dst_unused:UNUSED_PAD src0_sel:WORD_1 src1_sel:DWORD
	v_add_f16_e32 v122, v127, v122
	v_fma_f16 v127, v66, s13, v128
	v_pk_add_f16 v116, v116, v67
	v_add_f16_sdwa v121, v60, v121 dst_sel:DWORD dst_unused:UNUSED_PAD src0_sel:WORD_1 src1_sel:DWORD
	v_add_f16_e32 v124, v127, v124
	v_pk_add_f16 v127, v58, v67
	v_pk_add_f16 v67, v67, v58 neg_lo:[0,1] neg_hi:[0,1]
	s_movk_i32 s22, 0x3b47
	v_add_f16_sdwa v125, v60, v125 dst_sel:DWORD dst_unused:UNUSED_PAD src0_sel:WORD_1 src1_sel:DWORD
	v_add_f16_e32 v121, v129, v121
	v_fma_f16 v129, v66, s9, v128
	v_mul_f16_sdwa v128, v67, s22 dst_sel:DWORD dst_unused:UNUSED_PAD src0_sel:WORD_1 src1_sel:DWORD
	s_movk_i32 s16, 0x36a6
	v_add_f16_e32 v125, v129, v125
	v_fma_f16 v129, v127, s16, v128
	v_add_f16_e32 v119, v129, v119
	v_mul_f16_sdwa v129, v127, s16 dst_sel:DWORD dst_unused:UNUSED_PAD src0_sel:WORD_1 src1_sel:DWORD
	v_fma_f16 v128, v127, s16, -v128
	v_add_f16_e32 v118, v128, v118
	v_fma_f16 v128, v67, s22, v129
	s_mov_b32 s20, 0xb853
	s_mov_b32 s18, 0xbb47
	v_add_f16_e32 v120, v128, v120
	v_mul_f16_sdwa v128, v67, s20 dst_sel:DWORD dst_unused:UNUSED_PAD src0_sel:WORD_1 src1_sel:DWORD
	s_movk_i32 s19, 0x3abb
	v_fma_f16 v130, v67, s18, v129
	v_fma_f16 v129, v127, s19, v128
	v_add_f16_e32 v123, v129, v123
	v_mul_f16_sdwa v129, v127, s19 dst_sel:DWORD dst_unused:UNUSED_PAD src0_sel:WORD_1 src1_sel:DWORD
	v_fma_f16 v128, v127, s19, -v128
	v_add_f16_e32 v122, v128, v122
	v_fma_f16 v128, v67, s20, v129
	v_pk_add_f16 v116, v116, v62
	s_movk_i32 s21, 0x3853
	v_add_f16_e32 v124, v128, v124
	v_pk_add_f16 v128, v65, v62
	v_pk_add_f16 v62, v62, v65 neg_lo:[0,1] neg_hi:[0,1]
	v_add_f16_e32 v121, v130, v121
	v_fma_f16 v130, v67, s21, v129
	v_mul_f16_sdwa v129, v62, s20 dst_sel:DWORD dst_unused:UNUSED_PAD src0_sel:WORD_1 src1_sel:DWORD
	v_add_f16_e32 v125, v130, v125
	v_fma_f16 v130, v128, s19, v129
	v_add_f16_e32 v119, v130, v119
	v_mul_f16_sdwa v130, v128, s19 dst_sel:DWORD dst_unused:UNUSED_PAD src0_sel:WORD_1 src1_sel:DWORD
	v_fma_f16 v129, v128, s19, -v129
	v_add_f16_e32 v118, v129, v118
	v_fma_f16 v129, v62, s20, v130
	v_add_f16_e32 v120, v129, v120
	v_mul_f16_sdwa v129, v62, s15 dst_sel:DWORD dst_unused:UNUSED_PAD src0_sel:WORD_1 src1_sel:DWORD
	v_fma_f16 v131, v62, s21, v130
	v_fma_f16 v130, v128, s12, v129
	v_add_f16_e32 v123, v130, v123
	v_mul_f16_sdwa v130, v128, s12 dst_sel:DWORD dst_unused:UNUSED_PAD src0_sel:WORD_1 src1_sel:DWORD
	v_fma_f16 v129, v128, s12, -v129
	v_pk_add_f16 v116, v116, v63
	v_add_f16_e32 v122, v129, v122
	v_fma_f16 v129, v62, s15, v130
	v_pk_add_f16 v116, v116, v64
	v_add_f16_e32 v124, v129, v124
	v_pk_add_f16 v129, v63, v64 neg_lo:[0,1] neg_hi:[0,1]
	v_add_f16_e32 v121, v131, v121
	v_fma_f16 v131, v62, s17, v130
	v_mul_f16_sdwa v130, v129, s11 dst_sel:DWORD dst_unused:UNUSED_PAD src0_sel:WORD_1 src1_sel:DWORD
	v_pk_add_f16 v63, v64, v63
	v_pk_add_f16 v64, v116, v65
	v_add_f16_e32 v125, v131, v125
	v_pk_add_f16 v58, v64, v58
	v_fma_f16 v64, v63, s10, v130
	v_mul_f16_sdwa v131, v129, s22 dst_sel:DWORD dst_unused:UNUSED_PAD src0_sel:WORD_1 src1_sel:DWORD
	v_add_f16_e32 v64, v64, v119
	v_mul_f16_sdwa v65, v63, s10 dst_sel:DWORD dst_unused:UNUSED_PAD src0_sel:WORD_1 src1_sel:DWORD
	v_fma_f16 v119, v63, s10, -v130
	v_fma_f16 v116, v129, s23, v65
	v_add_f16_e32 v118, v119, v118
	v_fma_f16 v65, v129, s11, v65
	v_fma_f16 v119, v63, s16, v131
	v_add_f16_e32 v65, v65, v120
	v_add_f16_e32 v119, v119, v123
	v_mul_f16_sdwa v120, v63, s16 dst_sel:DWORD dst_unused:UNUSED_PAD src0_sel:WORD_1 src1_sel:DWORD
	v_fma_f16 v123, v63, s16, -v131
	v_add_f16_e32 v116, v116, v121
	v_fma_f16 v121, v129, s18, v120
	v_add_f16_e32 v122, v123, v122
	v_fma_f16 v120, v129, s22, v120
	v_pk_mul_f16 v123, v61, s18 op_sel_hi:[1,0]
	v_add_f16_e32 v120, v120, v124
	v_pk_fma_f16 v124, v117, s16, v123 op_sel:[0,0,1] op_sel_hi:[1,0,0]
	v_pk_fma_f16 v123, v117, s16, v123 op_sel:[0,0,1] op_sel_hi:[1,0,0] neg_lo:[0,0,1] neg_hi:[0,0,1]
	s_mov_b32 s14, 0xffff
	v_pk_mul_f16 v130, v66, s11 op_sel_hi:[1,0]
	v_add_f16_e32 v121, v121, v125
	v_bfi_b32 v125, s14, v124, v123
	v_pk_add_f16 v123, v60, v123
	v_pk_fma_f16 v131, v126, s10, v130 op_sel:[0,0,1] op_sel_hi:[1,0,0]
	v_pk_fma_f16 v130, v126, s10, v130 op_sel:[0,0,1] op_sel_hi:[1,0,0] neg_lo:[0,0,1] neg_hi:[0,0,1]
	v_pk_add_f16 v124, v60, v124
	v_bfi_b32 v132, s14, v131, v130
	v_pk_add_f16 v123, v130, v123
	v_pk_mul_f16 v130, v67, s17 op_sel_hi:[1,0]
	v_pk_add_f16 v125, v60, v125
	v_pk_add_f16 v124, v131, v124
	v_pk_fma_f16 v131, v127, s12, v130 op_sel:[0,0,1] op_sel_hi:[1,0,0]
	v_pk_fma_f16 v130, v127, s12, v130 op_sel:[0,0,1] op_sel_hi:[1,0,0] neg_lo:[0,0,1] neg_hi:[0,0,1]
	v_pk_add_f16 v125, v132, v125
	v_bfi_b32 v132, s14, v131, v130
	v_pk_add_f16 v123, v130, v123
	v_pk_mul_f16 v130, v62, s13 op_sel_hi:[1,0]
	v_pk_add_f16 v124, v131, v124
	v_pk_fma_f16 v131, v128, s8, v130 op_sel:[0,0,1] op_sel_hi:[1,0,0]
	v_pk_fma_f16 v130, v128, s8, v130 op_sel:[0,0,1] op_sel_hi:[1,0,0] neg_lo:[0,0,1] neg_hi:[0,0,1]
	v_pk_add_f16 v125, v132, v125
	v_bfi_b32 v132, s14, v131, v130
	v_pk_add_f16 v123, v130, v123
	v_pk_mul_f16 v130, v129, s21 op_sel_hi:[1,0]
	v_pk_add_f16 v124, v131, v124
	v_pk_fma_f16 v131, v63, s19, v130 op_sel:[0,0,1] op_sel_hi:[1,0,0]
	v_pk_fma_f16 v130, v63, s19, v130 op_sel:[0,0,1] op_sel_hi:[1,0,0] neg_lo:[0,0,1] neg_hi:[0,0,1]
	v_pk_add_f16 v125, v132, v125
	v_bfi_b32 v132, s14, v131, v130
	v_pk_add_f16 v125, v132, v125
	v_pack_b32_f16 v64, v64, v116
	s_barrier
	ds_write2_b32 v77, v125, v64 offset0:2 offset1:3
	v_pack_b32_f16 v64, v119, v121
	ds_write_b32 v77, v64 offset:16
	v_pk_mul_f16 v64, v117, s12 op_sel_hi:[1,0]
	v_alignbit_b32 v121, s0, v60, 16
	v_pk_fma_f16 v116, v61, s15, v64 op_sel:[0,0,1] op_sel_hi:[1,0,0]
	v_pk_fma_f16 v64, v61, s15, v64 op_sel:[0,0,1] op_sel_hi:[1,0,0] neg_lo:[1,0,0] neg_hi:[1,0,0]
	v_alignbit_b32 v119, s0, v116, 16
	v_pk_add_f16 v116, v121, v116
	v_pk_mul_f16 v121, v126, s19 op_sel_hi:[1,0]
	v_pk_add_f16 v64, v60, v64 op_sel:[1,0] op_sel_hi:[0,1]
	v_pk_fma_f16 v125, v66, s21, v121 op_sel:[0,0,1] op_sel_hi:[1,0,0]
	v_pk_fma_f16 v121, v66, s21, v121 op_sel:[0,0,1] op_sel_hi:[1,0,0] neg_lo:[1,0,0] neg_hi:[1,0,0]
	v_pk_add_f16 v123, v130, v123
	v_pk_add_f16 v64, v121, v64
	v_pk_mul_f16 v121, v127, s10 op_sel_hi:[1,0]
	v_alignbit_b32 v130, s0, v125, 16
	v_pk_add_f16 v116, v125, v116
	v_pk_fma_f16 v125, v67, s11, v121 op_sel:[0,0,1] op_sel_hi:[1,0,0]
	v_pk_fma_f16 v121, v67, s11, v121 op_sel:[0,0,1] op_sel_hi:[1,0,0] neg_lo:[1,0,0] neg_hi:[1,0,0]
	v_pk_add_f16 v119, v60, v119
	v_pk_add_f16 v64, v121, v64
	v_pk_mul_f16 v121, v128, s16 op_sel_hi:[1,0]
	v_pk_add_f16 v119, v130, v119
	v_alignbit_b32 v130, s0, v125, 16
	v_pk_add_f16 v116, v125, v116
	v_pk_fma_f16 v125, v62, s22, v121 op_sel:[0,0,1] op_sel_hi:[1,0,0]
	v_pk_fma_f16 v121, v62, s22, v121 op_sel:[0,0,1] op_sel_hi:[1,0,0] neg_lo:[1,0,0] neg_hi:[1,0,0]
	v_pk_add_f16 v119, v130, v119
	v_pk_add_f16 v64, v121, v64
	v_pk_mul_f16 v121, v63, s8 op_sel_hi:[1,0]
	v_alignbit_b32 v130, s0, v125, 16
	v_pk_add_f16 v116, v125, v116
	v_pk_fma_f16 v125, v129, s9, v121 op_sel:[0,0,1] op_sel_hi:[1,0,0]
	v_pk_add_f16 v119, v130, v119
	v_alignbit_b32 v130, s0, v125, 16
	v_pk_fma_f16 v121, v129, s9, v121 op_sel:[0,0,1] op_sel_hi:[1,0,0] neg_lo:[1,0,0] neg_hi:[1,0,0]
	v_pk_add_f16 v119, v130, v119
	v_pk_add_f16 v64, v121, v64
	v_pk_add_f16 v116, v125, v116
	v_pk_mul_f16 v61, v61, s20 op_sel_hi:[1,0]
	v_alignbit_b32 v116, v116, v64, 16
	v_pack_b32_f16 v64, v119, v64
	ds_write2_b32 v77, v64, v116 offset0:5 offset1:6
	v_pack_b32_f16 v64, v118, v65
	v_pack_b32_f16 v65, v122, v120
	ds_write2_b32 v77, v65, v64 offset0:7 offset1:8
	v_pk_fma_f16 v64, v117, s19, v61 op_sel:[0,0,1] op_sel_hi:[1,0,0] neg_lo:[0,0,1] neg_hi:[0,0,1]
	v_pk_fma_f16 v61, v117, s19, v61 op_sel:[0,0,1] op_sel_hi:[1,0,0]
	v_pk_mul_f16 v66, v66, s18 op_sel_hi:[1,0]
	v_bfi_b32 v65, s14, v64, v61
	v_pk_fma_f16 v116, v126, s16, v66 op_sel:[0,0,1] op_sel_hi:[1,0,0] neg_lo:[0,0,1] neg_hi:[0,0,1]
	v_pk_fma_f16 v66, v126, s16, v66 op_sel:[0,0,1] op_sel_hi:[1,0,0]
	v_pk_add_f16 v65, v60, v65
	v_bfi_b32 v117, s14, v116, v66
	v_pk_mul_f16 v67, v67, s9 op_sel_hi:[1,0]
	v_bfi_b32 v61, s14, v61, v64
	v_pk_add_f16 v65, v117, v65
	v_pk_fma_f16 v117, v127, s8, v67 op_sel:[0,0,1] op_sel_hi:[1,0,0] neg_lo:[0,0,1] neg_hi:[0,0,1]
	v_pk_fma_f16 v67, v127, s8, v67 op_sel:[0,0,1] op_sel_hi:[1,0,0]
	v_pk_add_f16 v60, v60, v61
	v_bfi_b32 v61, s14, v66, v116
	v_pk_mul_f16 v62, v62, s11 op_sel_hi:[1,0]
	v_pk_add_f16 v60, v61, v60
	v_bfi_b32 v61, s14, v67, v117
	v_pk_add_f16 v60, v61, v60
	v_pk_fma_f16 v61, v128, s10, v62 op_sel:[0,0,1] op_sel_hi:[1,0,0]
	v_pk_fma_f16 v62, v128, s10, v62 op_sel:[0,0,1] op_sel_hi:[1,0,0] neg_lo:[0,0,1] neg_hi:[0,0,1]
	v_bfi_b32 v118, s14, v117, v67
	v_bfi_b32 v64, s14, v61, v62
	;; [unrolled: 1-line block ×3, first 2 shown]
	v_pk_mul_f16 v62, v129, s15 op_sel_hi:[1,0]
	v_pk_add_f16 v58, v58, v59
	v_pk_fma_f16 v59, v63, s12, v62 op_sel:[0,0,1] op_sel_hi:[1,0,0] neg_lo:[0,0,1] neg_hi:[0,0,1]
	v_pk_fma_f16 v62, v63, s12, v62 op_sel:[0,0,1] op_sel_hi:[1,0,0]
	v_pk_add_f16 v65, v118, v65
	v_pk_add_f16 v60, v64, v60
	v_bfi_b32 v63, s14, v62, v59
	v_pk_add_f16 v124, v131, v124
	v_pk_add_f16 v61, v61, v65
	;; [unrolled: 1-line block ×4, first 2 shown]
	v_bfi_b32 v59, s14, v59, v62
	v_pk_add_f16 v59, v59, v61
	ds_write2_b32 v77, v58, v60 offset1:1
	v_bfi_b32 v58, s14, v123, v124
	ds_write2_b32 v77, v58, v59 offset0:9 offset1:10
	s_and_saveexec_b64 s[0:1], vcc
	s_cbranch_execz .LBB0_13
; %bb.12:
	v_sub_f16_e32 v58, v53, v79
	v_mul_f16_e32 v59, 0xb482, v58
	v_add_f16_e32 v60, v80, v111
	v_sub_f16_e32 v62, v54, v9
	v_fma_f16 v61, v60, s12, v59
	v_mul_f16_e32 v63, 0x3853, v62
	v_add_f16_e32 v64, v81, v110
	v_add_f16_e32 v61, v109, v61
	v_fma_f16 v65, v64, s19, v63
	v_add_f16_e32 v61, v65, v61
	v_sub_f16_e32 v65, v55, v8
	v_mul_f16_e32 v66, 0xba0c, v65
	v_add_f16_e32 v67, v82, v113
	v_fma_f16 v77, v67, s10, v66
	v_add_f16_e32 v61, v77, v61
	v_sub_f16_e32 v77, v56, v11
	v_mul_f16_e32 v108, 0x3b47, v77
	;; [unrolled: 5-line block ×3, first 2 shown]
	v_add_f16_e32 v119, v115, v114
	v_fma_f16 v120, v119, s8, v118
	v_sub_f16_e32 v121, v111, v80
	v_fma_f16 v59, v60, s12, -v59
	v_add_f16_e32 v61, v120, v61
	v_add_f16_e32 v120, v79, v53
	v_mul_f16_e32 v122, 0xb482, v121
	v_sub_f16_e32 v125, v110, v81
	v_add_f16_e32 v59, v109, v59
	v_fma_f16 v63, v64, s19, -v63
	v_fma_f16 v123, v120, s12, -v122
	v_add_f16_e32 v124, v9, v54
	v_mul_f16_e32 v126, 0x3853, v125
	v_add_f16_e32 v59, v63, v59
	v_fma_f16 v63, v67, s10, -v66
	v_add_f16_e32 v123, v52, v123
	v_fma_f16 v127, v124, s19, -v126
	v_sub_f16_e32 v128, v113, v82
	v_add_f16_e32 v59, v63, v59
	v_fma_f16 v63, v116, s16, -v108
	v_add_f16_e32 v123, v127, v123
	v_add_f16_e32 v127, v8, v55
	v_mul_f16_e32 v129, 0xba0c, v128
	v_add_f16_e32 v59, v63, v59
	v_fma_f16 v63, v119, s8, -v118
	v_fma_f16 v130, v127, s10, -v129
	v_sub_f16_e32 v131, v112, v83
	v_add_f16_e32 v59, v63, v59
	v_fma_f16 v63, v120, s12, v122
	v_add_f16_e32 v123, v130, v123
	v_add_f16_e32 v130, v11, v56
	v_mul_f16_e32 v132, 0x3b47, v131
	v_add_f16_e32 v63, v52, v63
	v_fma_f16 v66, v124, s19, v126
	v_fma_f16 v133, v130, s16, -v132
	v_sub_f16_e32 v134, v114, v115
	v_add_f16_e32 v63, v66, v63
	v_fma_f16 v66, v127, s10, v129
	v_add_f16_e32 v123, v133, v123
	v_add_f16_e32 v133, v10, v57
	v_mul_f16_e32 v135, 0xbbeb, v134
	v_add_f16_e32 v63, v66, v63
	v_fma_f16 v66, v130, s16, v132
	v_add_f16_e32 v63, v66, v63
	v_fma_f16 v66, v133, s8, v135
	v_add_f16_e32 v63, v66, v63
	v_mul_f16_e32 v66, 0xb93d, v60
	v_fma_f16 v108, v58, s23, v66
	v_mul_f16_e32 v118, 0xb08e, v64
	v_add_f16_e32 v108, v109, v108
	v_fma_f16 v122, v62, s9, v118
	v_add_f16_e32 v108, v122, v108
	v_mul_f16_e32 v122, 0x3abb, v67
	v_fma_f16 v126, v65, s21, v122
	v_add_f16_e32 v108, v126, v108
	v_mul_f16_e32 v126, 0xbbad, v116
	;; [unrolled: 3-line block ×3, first 2 shown]
	v_fma_f16 v132, v117, s18, v129
	v_fma_f16 v136, v133, s8, -v135
	v_add_f16_e32 v108, v132, v108
	v_mul_f16_e32 v132, 0xba0c, v121
	v_add_f16_e32 v123, v136, v123
	v_fma_f16 v135, v120, s10, v132
	v_mul_f16_e32 v136, 0x3beb, v125
	v_add_f16_e32 v135, v52, v135
	v_fma_f16 v137, v124, s8, v136
	v_add_f16_e32 v135, v137, v135
	v_mul_f16_e32 v137, 0xb853, v128
	v_fma_f16 v138, v127, s19, v137
	v_add_f16_e32 v135, v138, v135
	v_mul_f16_e32 v138, 0xb482, v131
	;; [unrolled: 3-line block ×4, first 2 shown]
	v_add_f16_e32 v53, v53, v52
	v_fma_f16 v141, v58, s13, v140
	v_mul_f16_e32 v142, 0xbbad, v64
	v_add_f16_e32 v53, v54, v53
	v_add_f16_e32 v141, v109, v141
	v_fma_f16 v143, v62, s15, v142
	v_add_f16_e32 v53, v55, v53
	v_add_f16_e32 v141, v143, v141
	v_mul_f16_e32 v143, 0x36a6, v67
	v_add_f16_e32 v53, v56, v53
	v_fma_f16 v144, v65, s18, v143
	v_add_f16_e32 v53, v57, v53
	v_add_f16_e32 v141, v144, v141
	v_mul_f16_e32 v144, 0x3abb, v116
	;; [unrolled: 5-line block ×3, first 2 shown]
	v_add_f16_e32 v8, v8, v10
	v_fma_f16 v10, v58, s11, v66
	v_fma_f16 v146, v117, s23, v145
	v_add_f16_e32 v10, v109, v10
	v_fma_f16 v11, v62, s13, v118
	v_add_f16_e32 v141, v146, v141
	v_mul_f16_e32 v146, 0xbbeb, v121
	v_add_f16_e32 v10, v11, v10
	v_fma_f16 v11, v65, s20, v122
	v_fma_f16 v147, v120, s8, v146
	v_mul_f16_e32 v148, 0x3482, v125
	v_add_f16_e32 v10, v11, v10
	v_fma_f16 v11, v77, s15, v126
	v_add_f16_e32 v147, v52, v147
	v_fma_f16 v149, v124, s12, v148
	;; [unrolled: 2-line block ×3, first 2 shown]
	v_add_f16_e32 v147, v149, v147
	v_mul_f16_e32 v149, 0x3b47, v128
	v_add_f16_e32 v10, v11, v10
	v_fma_f16 v11, v120, s10, -v132
	v_fma_f16 v150, v127, s16, v149
	v_add_f16_e32 v11, v52, v11
	v_fma_f16 v53, v124, s8, -v136
	v_add_f16_e32 v147, v150, v147
	v_mul_f16_e32 v150, 0xb853, v131
	v_add_f16_e32 v11, v53, v11
	v_fma_f16 v53, v127, s19, -v137
	v_fma_f16 v151, v130, s19, v150
	v_add_f16_e32 v11, v53, v11
	v_fma_f16 v53, v130, s12, -v138
	v_add_f16_e32 v147, v151, v147
	v_mul_f16_e32 v151, 0xba0c, v134
	v_add_f16_e32 v11, v53, v11
	v_fma_f16 v53, v133, s16, -v139
	v_fma_f16 v152, v133, s10, v151
	v_add_f16_e32 v11, v53, v11
	v_fma_f16 v53, v58, s9, v140
	v_add_f16_e32 v147, v152, v147
	v_mul_f16_e32 v152, 0x36a6, v60
	v_add_f16_e32 v53, v109, v53
	v_fma_f16 v54, v62, s17, v142
	v_fma_f16 v153, v58, s22, v152
	v_mul_f16_e32 v154, 0xb93d, v64
	v_add_f16_e32 v53, v54, v53
	v_fma_f16 v54, v65, s22, v143
	v_add_f16_e32 v153, v109, v153
	v_fma_f16 v155, v62, s23, v154
	;; [unrolled: 2-line block ×3, first 2 shown]
	v_add_f16_e32 v153, v155, v153
	v_mul_f16_e32 v155, 0xbbad, v67
	v_add_f16_e32 v53, v54, v53
	v_fma_f16 v54, v117, s11, v145
	v_fma_f16 v156, v65, s15, v155
	v_add_f16_e32 v53, v54, v53
	v_fma_f16 v54, v120, s8, -v146
	v_add_f16_e32 v153, v156, v153
	v_mul_f16_e32 v156, 0xb08e, v116
	v_add_f16_e32 v54, v52, v54
	v_fma_f16 v55, v124, s12, -v148
	v_fma_f16 v157, v77, s9, v156
	v_add_f16_e32 v54, v55, v54
	v_fma_f16 v55, v127, s16, -v149
	v_add_f16_e32 v153, v157, v153
	v_mul_f16_e32 v157, 0x3abb, v119
	v_add_f16_e32 v54, v55, v54
	v_fma_f16 v55, v130, s19, -v150
	v_fma_f16 v158, v117, s20, v157
	v_add_f16_e32 v54, v55, v54
	v_fma_f16 v55, v133, s10, -v151
	v_add_f16_e32 v153, v158, v153
	v_mul_f16_e32 v158, 0xbb47, v121
	v_add_f16_e32 v54, v55, v54
	v_fma_f16 v55, v58, s18, v152
	v_fma_f16 v159, v120, s16, v158
	v_mul_f16_e32 v160, 0xba0c, v125
	v_add_f16_e32 v55, v109, v55
	v_fma_f16 v56, v62, s11, v154
	v_add_f16_e32 v159, v52, v159
	v_fma_f16 v161, v124, s10, v160
	;; [unrolled: 2-line block ×3, first 2 shown]
	v_add_f16_e32 v159, v161, v159
	v_mul_f16_e32 v161, 0x3482, v128
	v_add_f16_e32 v55, v56, v55
	v_fma_f16 v56, v77, s13, v156
	v_fma_f16 v162, v127, s12, v161
	v_add_f16_e32 v55, v56, v55
	v_fma_f16 v56, v117, s21, v157
	v_add_f16_e32 v159, v162, v159
	v_mul_f16_e32 v162, 0x3beb, v131
	v_add_f16_e32 v55, v56, v55
	v_fma_f16 v56, v120, s16, -v158
	v_fma_f16 v163, v130, s8, v162
	v_add_f16_e32 v56, v52, v56
	v_fma_f16 v57, v124, s10, -v160
	v_add_f16_e32 v159, v163, v159
	v_mul_f16_e32 v163, 0x3853, v134
	v_add_f16_e32 v56, v57, v56
	v_fma_f16 v57, v127, s12, -v161
	v_fma_f16 v164, v133, s19, v163
	v_mul_f16_e32 v60, 0x3abb, v60
	v_add_f16_e32 v56, v57, v56
	v_fma_f16 v57, v130, s8, -v162
	v_add_f16_e32 v159, v164, v159
	v_fma_f16 v164, v58, s21, v60
	v_mul_f16_e32 v64, 0x36a6, v64
	v_add_f16_e32 v56, v57, v56
	v_fma_f16 v57, v133, s19, -v163
	v_add_f16_e32 v164, v109, v164
	v_fma_f16 v165, v62, s22, v64
	v_mul_f16_e32 v67, 0xb08e, v67
	v_add_f16_e32 v8, v9, v8
	v_add_f16_e32 v9, v111, v109
	;; [unrolled: 1-line block ×3, first 2 shown]
	v_fma_f16 v57, v58, s20, v60
	v_add_f16_e32 v164, v165, v164
	v_fma_f16 v165, v65, s13, v67
	v_mul_f16_e32 v116, 0xb93d, v116
	v_add_f16_e32 v9, v110, v9
	v_add_f16_e32 v57, v109, v57
	v_fma_f16 v58, v62, s18, v64
	v_add_f16_e32 v164, v165, v164
	v_fma_f16 v165, v77, s23, v116
	v_mul_f16_e32 v119, 0xbbad, v119
	v_add_f16_e32 v9, v113, v9
	v_add_f16_e32 v57, v58, v57
	;; [unrolled: 6-line block ×5, first 2 shown]
	v_fma_f16 v58, v120, s19, -v121
	v_add_f16_e32 v165, v166, v165
	v_fma_f16 v166, v127, s8, v128
	v_mul_f16_e32 v131, 0xba0c, v131
	v_add_f16_e32 v9, v83, v9
	v_add_f16_e32 v52, v52, v58
	v_fma_f16 v58, v124, s16, -v125
	v_add_f16_e32 v165, v166, v165
	v_fma_f16 v166, v130, s10, v131
	v_mul_f16_e32 v134, 0xb482, v134
	v_add_f16_e32 v9, v82, v9
	v_add_f16_e32 v52, v58, v52
	v_fma_f16 v58, v127, s8, -v128
	v_add_f16_e32 v165, v166, v165
	v_fma_f16 v166, v133, s12, v134
	v_add_f16_e32 v9, v81, v9
	v_add_f16_e32 v52, v58, v52
	v_fma_f16 v58, v130, s10, -v131
	v_add_f16_e32 v165, v166, v165
	v_add_f16_e32 v8, v79, v8
	;; [unrolled: 1-line block ×4, first 2 shown]
	v_fma_f16 v58, v133, s12, -v134
	v_add_f16_e32 v52, v58, v52
	v_lshlrev_b32_e32 v58, 2, v78
	v_pack_b32_f16 v60, v165, v164
	v_pack_b32_f16 v8, v8, v9
	ds_write2_b32 v58, v8, v60 offset1:1
	v_pack_b32_f16 v8, v147, v141
	v_pack_b32_f16 v9, v159, v153
	ds_write2_b32 v58, v9, v8 offset0:2 offset1:3
	v_pack_b32_f16 v8, v63, v59
	v_pack_b32_f16 v9, v135, v108
	ds_write2_b32 v58, v9, v8 offset0:4 offset1:5
	;; [unrolled: 3-line block ×4, first 2 shown]
	v_pack_b32_f16 v8, v52, v57
	ds_write_b32 v58, v8 offset:40
.LBB0_13:
	s_or_b64 exec, exec, s[0:1]
	v_add_u32_e32 v9, 0x800, v0
	s_waitcnt lgkmcnt(0)
	s_barrier
	ds_read2_b32 v[60:61], v9 offset0:82 offset1:181
	v_add_u32_e32 v53, 0x1200, v0
	ds_read2_b32 v[62:63], v53 offset0:36 offset1:135
	v_add_u32_e32 v54, 0xc00, v0
	ds_read2_b32 v[66:67], v54 offset0:24 offset1:123
	s_waitcnt lgkmcnt(2)
	v_lshrrev_b32_e32 v57, 16, v60
	v_add_u32_e32 v10, 0x1400, v0
	v_mul_f16_sdwa v125, v12, v57 dst_sel:DWORD dst_unused:UNUSED_PAD src0_sel:WORD_1 src1_sel:DWORD
	s_waitcnt lgkmcnt(1)
	v_lshrrev_b32_e32 v77, 16, v62
	ds_read2_b32 v[78:79], v10 offset0:106 offset1:205
	v_fma_f16 v125, v12, v60, v125
	v_mul_f16_sdwa v60, v12, v60 dst_sel:DWORD dst_unused:UNUSED_PAD src0_sel:WORD_1 src1_sel:DWORD
	v_lshrrev_b32_e32 v111, 16, v61
	v_fma_f16 v12, v12, v57, -v60
	v_mul_f16_sdwa v57, v13, v77 dst_sel:DWORD dst_unused:UNUSED_PAD src0_sel:WORD_1 src1_sel:DWORD
	v_mul_f16_sdwa v60, v13, v62 dst_sel:DWORD dst_unused:UNUSED_PAD src0_sel:WORD_1 src1_sel:DWORD
	v_fma_f16 v57, v13, v62, v57
	v_fma_f16 v13, v13, v77, -v60
	v_mul_f16_sdwa v60, v14, v111 dst_sel:DWORD dst_unused:UNUSED_PAD src0_sel:WORD_1 src1_sel:DWORD
	v_lshrrev_b32_e32 v112, 16, v63
	v_add_u32_e32 v11, 0xe00, v0
	v_fma_f16 v60, v14, v61, v60
	v_mul_f16_sdwa v61, v14, v61 dst_sel:DWORD dst_unused:UNUSED_PAD src0_sel:WORD_1 src1_sel:DWORD
	s_waitcnt lgkmcnt(1)
	v_lshrrev_b32_e32 v114, 16, v66
	ds_read2_b32 v[82:83], v11 offset0:94 offset1:193
	v_add_u32_e32 v56, 0x1800, v0
	v_fma_f16 v14, v14, v111, -v61
	v_mul_f16_sdwa v61, v15, v112 dst_sel:DWORD dst_unused:UNUSED_PAD src0_sel:WORD_1 src1_sel:DWORD
	v_mul_f16_sdwa v62, v15, v63 dst_sel:DWORD dst_unused:UNUSED_PAD src0_sel:WORD_1 src1_sel:DWORD
	s_waitcnt lgkmcnt(1)
	v_lshrrev_b32_e32 v115, 16, v78
	ds_read2_b32 v[108:109], v56 offset0:48 offset1:147
	v_fma_f16 v61, v15, v63, v61
	v_fma_f16 v15, v15, v112, -v62
	v_mul_f16_sdwa v62, v16, v114 dst_sel:DWORD dst_unused:UNUSED_PAD src0_sel:WORD_1 src1_sel:DWORD
	v_mul_f16_sdwa v63, v16, v66 dst_sel:DWORD dst_unused:UNUSED_PAD src0_sel:WORD_1 src1_sel:DWORD
	v_lshrrev_b32_e32 v117, 16, v67
	v_fma_f16 v62, v16, v66, v62
	v_fma_f16 v16, v16, v114, -v63
	v_mul_f16_sdwa v63, v17, v115 dst_sel:DWORD dst_unused:UNUSED_PAD src0_sel:WORD_1 src1_sel:DWORD
	v_mul_f16_sdwa v66, v17, v78 dst_sel:DWORD dst_unused:UNUSED_PAD src0_sel:WORD_1 src1_sel:DWORD
	v_fma_f16 v63, v17, v78, v63
	v_fma_f16 v17, v17, v115, -v66
	v_mul_f16_sdwa v66, v18, v117 dst_sel:DWORD dst_unused:UNUSED_PAD src0_sel:WORD_1 src1_sel:DWORD
	v_lshrrev_b32_e32 v118, 16, v79
	v_fma_f16 v66, v18, v67, v66
	v_mul_f16_sdwa v67, v18, v67 dst_sel:DWORD dst_unused:UNUSED_PAD src0_sel:WORD_1 src1_sel:DWORD
	ds_read2_b32 v[58:59], v0 offset1:99
	s_waitcnt lgkmcnt(2)
	v_lshrrev_b32_e32 v120, 16, v82
	v_fma_f16 v18, v18, v117, -v67
	v_mul_f16_sdwa v67, v19, v118 dst_sel:DWORD dst_unused:UNUSED_PAD src0_sel:WORD_1 src1_sel:DWORD
	v_mul_f16_sdwa v77, v19, v79 dst_sel:DWORD dst_unused:UNUSED_PAD src0_sel:WORD_1 src1_sel:DWORD
	s_waitcnt lgkmcnt(1)
	v_lshrrev_b32_e32 v121, 16, v108
	v_fma_f16 v67, v19, v79, v67
	v_fma_f16 v19, v19, v118, -v77
	v_mul_f16_sdwa v77, v20, v120 dst_sel:DWORD dst_unused:UNUSED_PAD src0_sel:WORD_1 src1_sel:DWORD
	v_mul_f16_sdwa v78, v20, v82 dst_sel:DWORD dst_unused:UNUSED_PAD src0_sel:WORD_1 src1_sel:DWORD
	v_lshrrev_b32_e32 v123, 16, v83
	v_fma_f16 v77, v20, v82, v77
	v_fma_f16 v20, v20, v120, -v78
	v_mul_f16_sdwa v78, v21, v121 dst_sel:DWORD dst_unused:UNUSED_PAD src0_sel:WORD_1 src1_sel:DWORD
	v_mul_f16_sdwa v79, v21, v108 dst_sel:DWORD dst_unused:UNUSED_PAD src0_sel:WORD_1 src1_sel:DWORD
	v_lshrrev_b32_e32 v124, 16, v109
	v_fma_f16 v78, v21, v108, v78
	v_fma_f16 v21, v21, v121, -v79
	v_mul_f16_sdwa v79, v22, v123 dst_sel:DWORD dst_unused:UNUSED_PAD src0_sel:WORD_1 src1_sel:DWORD
	v_mul_f16_sdwa v82, v22, v83 dst_sel:DWORD dst_unused:UNUSED_PAD src0_sel:WORD_1 src1_sel:DWORD
	v_fma_f16 v79, v22, v83, v79
	v_fma_f16 v22, v22, v123, -v82
	v_mul_f16_sdwa v82, v23, v124 dst_sel:DWORD dst_unused:UNUSED_PAD src0_sel:WORD_1 src1_sel:DWORD
	v_mul_f16_sdwa v83, v23, v109 dst_sel:DWORD dst_unused:UNUSED_PAD src0_sel:WORD_1 src1_sel:DWORD
	v_add_f16_e32 v108, v125, v57
	s_waitcnt lgkmcnt(0)
	v_lshrrev_b32_e32 v8, 16, v58
	v_add_u32_e32 v55, 0x200, v0
	v_fma_f16 v82, v23, v109, v82
	v_fma_f16 v23, v23, v124, -v83
	v_add_f16_e32 v83, v58, v125
	v_fma_f16 v58, v108, -0.5, v58
	v_sub_f16_e32 v108, v12, v13
	s_mov_b32 s0, 0xbaee
	s_movk_i32 s1, 0x3aee
	ds_read2_b32 v[64:65], v55 offset0:70 offset1:169
	v_fma_f16 v109, v108, s0, v58
	v_fma_f16 v58, v108, s1, v58
	v_add_f16_e32 v108, v8, v12
	v_add_f16_e32 v12, v12, v13
	;; [unrolled: 1-line block ×3, first 2 shown]
	v_fma_f16 v8, v12, -0.5, v8
	v_sub_f16_e32 v12, v125, v57
	v_add_f16_e32 v57, v60, v61
	v_lshrrev_b32_e32 v110, 16, v59
	v_add_f16_e32 v108, v108, v13
	v_fma_f16 v13, v12, s1, v8
	v_fma_f16 v8, v12, s0, v8
	v_add_f16_e32 v12, v59, v60
	v_fma_f16 v57, v57, -0.5, v59
	v_sub_f16_e32 v59, v14, v15
	v_fma_f16 v111, v59, s0, v57
	v_fma_f16 v57, v59, s1, v57
	v_add_f16_e32 v59, v110, v14
	v_add_f16_e32 v14, v14, v15
	;; [unrolled: 1-line block ×4, first 2 shown]
	v_fma_f16 v14, v14, -0.5, v110
	v_sub_f16_e32 v15, v60, v61
	v_add_f16_e32 v61, v62, v63
	s_waitcnt lgkmcnt(0)
	v_lshrrev_b32_e32 v113, 16, v64
	v_add_u32_e32 v52, 0x400, v0
	v_fma_f16 v60, v15, s1, v14
	v_fma_f16 v14, v15, s0, v14
	v_add_f16_e32 v15, v64, v62
	v_fma_f16 v61, v61, -0.5, v64
	v_sub_f16_e32 v64, v16, v17
	ds_read2_b32 v[80:81], v52 offset0:140 offset1:239
	v_fma_f16 v110, v64, s0, v61
	v_fma_f16 v61, v64, s1, v61
	v_add_f16_e32 v64, v113, v16
	v_add_f16_e32 v16, v16, v17
	;; [unrolled: 1-line block ×4, first 2 shown]
	v_fma_f16 v16, v16, -0.5, v113
	v_sub_f16_e32 v17, v62, v63
	v_add_f16_e32 v63, v66, v67
	v_lshrrev_b32_e32 v116, 16, v65
	v_fma_f16 v62, v17, s1, v16
	v_fma_f16 v16, v17, s0, v16
	v_add_f16_e32 v17, v65, v66
	v_fma_f16 v63, v63, -0.5, v65
	v_sub_f16_e32 v65, v18, v19
	v_fma_f16 v112, v65, s0, v63
	v_fma_f16 v63, v65, s1, v63
	v_add_f16_e32 v65, v116, v18
	v_add_f16_e32 v18, v18, v19
	;; [unrolled: 1-line block ×4, first 2 shown]
	v_fma_f16 v18, v18, -0.5, v116
	v_sub_f16_e32 v19, v66, v67
	v_add_f16_e32 v67, v77, v78
	s_waitcnt lgkmcnt(0)
	v_lshrrev_b32_e32 v119, 16, v80
	v_fma_f16 v66, v19, s1, v18
	v_fma_f16 v18, v19, s0, v18
	v_add_f16_e32 v19, v80, v77
	v_fma_f16 v67, v67, -0.5, v80
	v_sub_f16_e32 v80, v20, v21
	v_fma_f16 v113, v80, s0, v67
	v_fma_f16 v67, v80, s1, v67
	v_add_f16_e32 v80, v119, v20
	v_add_f16_e32 v20, v20, v21
	;; [unrolled: 1-line block ×4, first 2 shown]
	v_fma_f16 v20, v20, -0.5, v119
	v_sub_f16_e32 v21, v77, v78
	v_add_f16_e32 v78, v79, v82
	v_lshrrev_b32_e32 v122, 16, v81
	v_fma_f16 v77, v21, s1, v20
	v_fma_f16 v20, v21, s0, v20
	v_add_f16_e32 v21, v81, v79
	v_fma_f16 v78, v78, -0.5, v81
	v_sub_f16_e32 v81, v22, v23
	v_fma_f16 v114, v81, s0, v78
	v_fma_f16 v78, v81, s1, v78
	v_add_f16_e32 v81, v122, v22
	v_add_f16_e32 v22, v22, v23
	;; [unrolled: 1-line block ×3, first 2 shown]
	v_fma_f16 v22, v22, -0.5, v122
	v_sub_f16_e32 v23, v79, v82
	v_fma_f16 v79, v23, s1, v22
	v_fma_f16 v22, v23, s0, v22
	v_pack_b32_f16 v23, v83, v108
	v_pack_b32_f16 v13, v109, v13
	;; [unrolled: 1-line block ×3, first 2 shown]
	s_barrier
	ds_write2_b32 v5, v23, v13 offset1:11
	ds_write_b32 v5, v8 offset:88
	v_pack_b32_f16 v5, v12, v59
	v_pack_b32_f16 v8, v111, v60
	ds_write2_b32 v84, v5, v8 offset1:11
	v_pack_b32_f16 v5, v57, v14
	ds_write_b32 v84, v5 offset:88
	v_pack_b32_f16 v5, v15, v64
	v_pack_b32_f16 v8, v110, v62
	ds_write2_b32 v85, v5, v8 offset1:11
	v_pack_b32_f16 v5, v61, v16
	;; [unrolled: 5-line block ×3, first 2 shown]
	ds_write_b32 v86, v5 offset:88
	v_pack_b32_f16 v5, v19, v80
	v_pack_b32_f16 v8, v113, v77
	v_add_f16_e32 v21, v21, v82
	ds_write2_b32 v87, v5, v8 offset1:11
	v_pack_b32_f16 v5, v67, v20
	ds_write_b32 v87, v5 offset:88
	v_pack_b32_f16 v5, v21, v81
	v_pack_b32_f16 v8, v114, v79
	ds_write2_b32 v88, v5, v8 offset1:11
	v_pack_b32_f16 v5, v78, v22
	ds_write_b32 v88, v5 offset:88
	s_waitcnt lgkmcnt(0)
	s_barrier
	ds_read2_b32 v[12:13], v0 offset1:99
	ds_read2_b32 v[14:15], v9 offset0:82 offset1:181
	ds_read2_b32 v[16:17], v53 offset0:36 offset1:135
	;; [unrolled: 1-line block ×8, first 2 shown]
	s_waitcnt lgkmcnt(8)
	v_lshrrev_b32_e32 v5, 16, v12
	s_waitcnt lgkmcnt(7)
	v_lshrrev_b32_e32 v8, 16, v14
	v_mul_f16_sdwa v88, v24, v8 dst_sel:DWORD dst_unused:UNUSED_PAD src0_sel:WORD_1 src1_sel:DWORD
	s_waitcnt lgkmcnt(6)
	v_lshrrev_b32_e32 v57, 16, v16
	v_fma_f16 v88, v24, v14, v88
	v_mul_f16_sdwa v14, v24, v14 dst_sel:DWORD dst_unused:UNUSED_PAD src0_sel:WORD_1 src1_sel:DWORD
	v_fma_f16 v8, v24, v8, -v14
	v_mul_f16_sdwa v14, v25, v57 dst_sel:DWORD dst_unused:UNUSED_PAD src0_sel:WORD_1 src1_sel:DWORD
	v_lshrrev_b32_e32 v65, 16, v15
	v_lshrrev_b32_e32 v66, 16, v17
	v_fma_f16 v14, v25, v16, v14
	v_mul_f16_sdwa v16, v25, v16 dst_sel:DWORD dst_unused:UNUSED_PAD src0_sel:WORD_1 src1_sel:DWORD
	v_fma_f16 v16, v25, v57, -v16
	v_mul_f16_sdwa v24, v26, v65 dst_sel:DWORD dst_unused:UNUSED_PAD src0_sel:WORD_1 src1_sel:DWORD
	v_mul_f16_sdwa v25, v27, v66 dst_sel:DWORD dst_unused:UNUSED_PAD src0_sel:WORD_1 src1_sel:DWORD
	s_waitcnt lgkmcnt(4)
	v_lshrrev_b32_e32 v77, 16, v20
	s_waitcnt lgkmcnt(3)
	v_lshrrev_b32_e32 v78, 16, v22
	v_fma_f16 v24, v26, v15, v24
	v_mul_f16_sdwa v15, v26, v15 dst_sel:DWORD dst_unused:UNUSED_PAD src0_sel:WORD_1 src1_sel:DWORD
	v_fma_f16 v25, v27, v17, v25
	v_mul_f16_sdwa v17, v27, v17 dst_sel:DWORD dst_unused:UNUSED_PAD src0_sel:WORD_1 src1_sel:DWORD
	v_fma_f16 v15, v26, v65, -v15
	v_fma_f16 v17, v27, v66, -v17
	v_mul_f16_sdwa v26, v28, v77 dst_sel:DWORD dst_unused:UNUSED_PAD src0_sel:WORD_1 src1_sel:DWORD
	v_mul_f16_sdwa v27, v29, v78 dst_sel:DWORD dst_unused:UNUSED_PAD src0_sel:WORD_1 src1_sel:DWORD
	v_lshrrev_b32_e32 v80, 16, v21
	v_lshrrev_b32_e32 v81, 16, v23
	v_fma_f16 v26, v28, v20, v26
	v_mul_f16_sdwa v20, v28, v20 dst_sel:DWORD dst_unused:UNUSED_PAD src0_sel:WORD_1 src1_sel:DWORD
	v_fma_f16 v27, v29, v22, v27
	v_mul_f16_sdwa v22, v29, v22 dst_sel:DWORD dst_unused:UNUSED_PAD src0_sel:WORD_1 src1_sel:DWORD
	v_fma_f16 v20, v28, v77, -v20
	v_fma_f16 v22, v29, v78, -v22
	v_mul_f16_sdwa v28, v30, v80 dst_sel:DWORD dst_unused:UNUSED_PAD src0_sel:WORD_1 src1_sel:DWORD
	v_mul_f16_sdwa v29, v31, v81 dst_sel:DWORD dst_unused:UNUSED_PAD src0_sel:WORD_1 src1_sel:DWORD
	s_waitcnt lgkmcnt(1)
	v_lshrrev_b32_e32 v83, 16, v60
	v_fma_f16 v28, v30, v21, v28
	v_mul_f16_sdwa v21, v30, v21 dst_sel:DWORD dst_unused:UNUSED_PAD src0_sel:WORD_1 src1_sel:DWORD
	v_fma_f16 v29, v31, v23, v29
	v_mul_f16_sdwa v23, v31, v23 dst_sel:DWORD dst_unused:UNUSED_PAD src0_sel:WORD_1 src1_sel:DWORD
	s_waitcnt lgkmcnt(0)
	v_lshrrev_b32_e32 v84, 16, v62
	v_fma_f16 v21, v30, v80, -v21
	v_fma_f16 v23, v31, v81, -v23
	v_mul_f16_sdwa v30, v32, v83 dst_sel:DWORD dst_unused:UNUSED_PAD src0_sel:WORD_1 src1_sel:DWORD
	v_mul_f16_sdwa v31, v32, v60 dst_sel:DWORD dst_unused:UNUSED_PAD src0_sel:WORD_1 src1_sel:DWORD
	v_lshrrev_b32_e32 v86, 16, v61
	v_fma_f16 v30, v32, v60, v30
	v_fma_f16 v31, v32, v83, -v31
	v_mul_f16_sdwa v32, v33, v84 dst_sel:DWORD dst_unused:UNUSED_PAD src0_sel:WORD_1 src1_sel:DWORD
	v_mul_f16_sdwa v57, v33, v62 dst_sel:DWORD dst_unused:UNUSED_PAD src0_sel:WORD_1 src1_sel:DWORD
	v_lshrrev_b32_e32 v87, 16, v63
	v_fma_f16 v32, v33, v62, v32
	v_fma_f16 v33, v33, v84, -v57
	v_mul_f16_sdwa v57, v34, v86 dst_sel:DWORD dst_unused:UNUSED_PAD src0_sel:WORD_1 src1_sel:DWORD
	v_mul_f16_sdwa v60, v34, v61 dst_sel:DWORD dst_unused:UNUSED_PAD src0_sel:WORD_1 src1_sel:DWORD
	v_fma_f16 v57, v34, v61, v57
	v_fma_f16 v34, v34, v86, -v60
	v_mul_f16_sdwa v60, v35, v87 dst_sel:DWORD dst_unused:UNUSED_PAD src0_sel:WORD_1 src1_sel:DWORD
	v_mul_f16_sdwa v61, v35, v63 dst_sel:DWORD dst_unused:UNUSED_PAD src0_sel:WORD_1 src1_sel:DWORD
	v_add_f16_e32 v62, v88, v14
	v_fma_f16 v60, v35, v63, v60
	v_fma_f16 v35, v35, v87, -v61
	v_add_f16_e32 v61, v12, v88
	v_fma_f16 v12, v62, -0.5, v12
	v_sub_f16_e32 v62, v8, v16
	v_fma_f16 v63, v62, s0, v12
	v_fma_f16 v12, v62, s1, v12
	v_add_f16_e32 v62, v5, v8
	v_add_f16_e32 v8, v8, v16
	;; [unrolled: 1-line block ×3, first 2 shown]
	v_fma_f16 v5, v8, -0.5, v5
	v_sub_f16_e32 v8, v88, v14
	v_add_f16_e32 v16, v24, v25
	v_lshrrev_b32_e32 v64, 16, v13
	v_add_f16_e32 v61, v61, v14
	v_fma_f16 v14, v8, s1, v5
	v_fma_f16 v5, v8, s0, v5
	v_add_f16_e32 v8, v13, v24
	v_fma_f16 v13, v16, -0.5, v13
	v_sub_f16_e32 v16, v15, v17
	v_fma_f16 v65, v16, s0, v13
	v_fma_f16 v13, v16, s1, v13
	v_add_f16_e32 v16, v64, v15
	v_add_f16_e32 v15, v15, v17
	v_add_f16_e32 v8, v8, v25
	v_add_f16_e32 v16, v16, v17
	v_fma_f16 v15, v15, -0.5, v64
	v_sub_f16_e32 v17, v24, v25
	v_add_f16_e32 v25, v26, v27
	v_lshrrev_b32_e32 v67, 16, v18
	v_fma_f16 v24, v17, s1, v15
	v_fma_f16 v15, v17, s0, v15
	v_add_f16_e32 v17, v18, v26
	v_fma_f16 v18, v25, -0.5, v18
	v_sub_f16_e32 v25, v20, v22
	v_fma_f16 v64, v25, s0, v18
	v_fma_f16 v18, v25, s1, v18
	v_add_f16_e32 v25, v67, v20
	v_add_f16_e32 v20, v20, v22
	v_add_f16_e32 v17, v17, v27
	v_add_f16_e32 v25, v25, v22
	v_fma_f16 v20, v20, -0.5, v67
	v_sub_f16_e32 v22, v26, v27
	v_add_f16_e32 v27, v28, v29
	v_lshrrev_b32_e32 v79, 16, v19
	;; [unrolled: 15-line block ×3, first 2 shown]
	v_fma_f16 v28, v23, s1, v21
	v_fma_f16 v21, v23, s0, v21
	v_add_f16_e32 v23, v58, v30
	v_fma_f16 v29, v29, -0.5, v58
	v_sub_f16_e32 v58, v31, v33
	v_fma_f16 v67, v58, s0, v29
	v_fma_f16 v29, v58, s1, v29
	v_add_f16_e32 v58, v82, v31
	v_add_f16_e32 v31, v31, v33
	;; [unrolled: 1-line block ×3, first 2 shown]
	v_fma_f16 v31, v31, -0.5, v82
	v_sub_f16_e32 v30, v30, v32
	v_add_f16_e32 v33, v57, v60
	v_lshrrev_b32_e32 v85, 16, v59
	v_add_f16_e32 v23, v23, v32
	v_fma_f16 v32, v30, s1, v31
	v_fma_f16 v30, v30, s0, v31
	v_add_f16_e32 v31, v59, v57
	v_fma_f16 v33, v33, -0.5, v59
	v_sub_f16_e32 v59, v34, v35
	v_fma_f16 v77, v59, s0, v33
	v_fma_f16 v33, v59, s1, v33
	v_add_f16_e32 v59, v85, v34
	v_add_f16_e32 v34, v34, v35
	;; [unrolled: 1-line block ×3, first 2 shown]
	v_fma_f16 v34, v34, -0.5, v85
	v_sub_f16_e32 v35, v57, v60
	v_pack_b32_f16 v5, v12, v5
	v_fma_f16 v57, v35, s1, v34
	v_fma_f16 v34, v35, s0, v34
	s_barrier
	v_pack_b32_f16 v35, v61, v62
	v_pack_b32_f16 v14, v63, v14
	ds_write_b32 v89, v5 offset:264
	v_pack_b32_f16 v5, v8, v16
	v_pack_b32_f16 v8, v65, v24
	ds_write2_b32 v89, v35, v14 offset1:33
	ds_write2_b32 v90, v5, v8 offset1:33
	v_pack_b32_f16 v5, v13, v15
	ds_write_b32 v90, v5 offset:264
	v_pack_b32_f16 v5, v17, v25
	v_pack_b32_f16 v8, v64, v26
	ds_write2_b32 v91, v5, v8 offset1:33
	v_pack_b32_f16 v5, v18, v20
	ds_write_b32 v91, v5 offset:264
	v_pack_b32_f16 v5, v22, v27
	v_pack_b32_f16 v8, v66, v28
	;; [unrolled: 5-line block ×3, first 2 shown]
	v_add_f16_e32 v31, v31, v60
	ds_write2_b32 v93, v5, v8 offset1:33
	v_pack_b32_f16 v5, v29, v30
	ds_write_b32 v93, v5 offset:264
	v_pack_b32_f16 v5, v31, v59
	v_pack_b32_f16 v8, v77, v57
	ds_write2_b32 v94, v5, v8 offset1:33
	v_pack_b32_f16 v5, v33, v34
	ds_write_b32 v94, v5 offset:264
	s_waitcnt lgkmcnt(0)
	s_barrier
	ds_read2_b32 v[12:13], v0 offset1:99
	ds_read2_b32 v[14:15], v9 offset0:82 offset1:181
	ds_read2_b32 v[16:17], v53 offset0:36 offset1:135
	;; [unrolled: 1-line block ×8, first 2 shown]
	s_waitcnt lgkmcnt(8)
	v_lshrrev_b32_e32 v5, 16, v12
	s_waitcnt lgkmcnt(7)
	v_lshrrev_b32_e32 v8, 16, v14
	v_mul_f16_sdwa v67, v36, v8 dst_sel:DWORD dst_unused:UNUSED_PAD src0_sel:WORD_1 src1_sel:DWORD
	s_waitcnt lgkmcnt(6)
	v_lshrrev_b32_e32 v30, 16, v16
	v_fma_f16 v67, v36, v14, v67
	v_mul_f16_sdwa v14, v36, v14 dst_sel:DWORD dst_unused:UNUSED_PAD src0_sel:WORD_1 src1_sel:DWORD
	v_fma_f16 v8, v36, v8, -v14
	v_mul_f16_sdwa v14, v37, v30 dst_sel:DWORD dst_unused:UNUSED_PAD src0_sel:WORD_1 src1_sel:DWORD
	v_lshrrev_b32_e32 v32, 16, v15
	v_fma_f16 v14, v37, v16, v14
	v_mul_f16_sdwa v16, v37, v16 dst_sel:DWORD dst_unused:UNUSED_PAD src0_sel:WORD_1 src1_sel:DWORD
	v_fma_f16 v16, v37, v30, -v16
	v_mul_f16_sdwa v30, v36, v32 dst_sel:DWORD dst_unused:UNUSED_PAD src0_sel:WORD_1 src1_sel:DWORD
	;; [unrolled: 5-line block ×3, first 2 shown]
	s_waitcnt lgkmcnt(4)
	v_lshrrev_b32_e32 v35, 16, v20
	v_fma_f16 v32, v37, v17, v32
	v_mul_f16_sdwa v17, v37, v17 dst_sel:DWORD dst_unused:UNUSED_PAD src0_sel:WORD_1 src1_sel:DWORD
	v_fma_f16 v17, v37, v33, -v17
	v_mul_f16_sdwa v33, v38, v35 dst_sel:DWORD dst_unused:UNUSED_PAD src0_sel:WORD_1 src1_sel:DWORD
	s_waitcnt lgkmcnt(3)
	v_lshrrev_b32_e32 v57, 16, v22
	v_fma_f16 v33, v38, v20, v33
	v_mul_f16_sdwa v20, v38, v20 dst_sel:DWORD dst_unused:UNUSED_PAD src0_sel:WORD_1 src1_sel:DWORD
	v_fma_f16 v20, v38, v35, -v20
	v_mul_f16_sdwa v35, v39, v57 dst_sel:DWORD dst_unused:UNUSED_PAD src0_sel:WORD_1 src1_sel:DWORD
	v_lshrrev_b32_e32 v59, 16, v21
	s_waitcnt lgkmcnt(0)
	v_lshrrev_b32_e32 v63, 16, v28
	v_fma_f16 v35, v39, v22, v35
	v_mul_f16_sdwa v22, v39, v22 dst_sel:DWORD dst_unused:UNUSED_PAD src0_sel:WORD_1 src1_sel:DWORD
	v_lshrrev_b32_e32 v62, 16, v26
	v_fma_f16 v22, v39, v57, -v22
	v_mul_f16_sdwa v36, v40, v59 dst_sel:DWORD dst_unused:UNUSED_PAD src0_sel:WORD_1 src1_sel:DWORD
	v_mul_f16_sdwa v39, v43, v63 dst_sel:DWORD dst_unused:UNUSED_PAD src0_sel:WORD_1 src1_sel:DWORD
	v_lshrrev_b32_e32 v65, 16, v27
	v_fma_f16 v36, v40, v21, v36
	v_mul_f16_sdwa v21, v40, v21 dst_sel:DWORD dst_unused:UNUSED_PAD src0_sel:WORD_1 src1_sel:DWORD
	v_mul_f16_sdwa v38, v42, v62 dst_sel:DWORD dst_unused:UNUSED_PAD src0_sel:WORD_1 src1_sel:DWORD
	v_fma_f16 v39, v43, v28, v39
	v_mul_f16_sdwa v28, v43, v28 dst_sel:DWORD dst_unused:UNUSED_PAD src0_sel:WORD_1 src1_sel:DWORD
	v_lshrrev_b32_e32 v60, 16, v23
	v_fma_f16 v21, v40, v59, -v21
	v_fma_f16 v38, v42, v26, v38
	v_mul_f16_sdwa v26, v42, v26 dst_sel:DWORD dst_unused:UNUSED_PAD src0_sel:WORD_1 src1_sel:DWORD
	v_fma_f16 v28, v43, v63, -v28
	v_mul_f16_sdwa v40, v44, v65 dst_sel:DWORD dst_unused:UNUSED_PAD src0_sel:WORD_1 src1_sel:DWORD
	v_add_f16_e32 v43, v67, v14
	v_mul_f16_sdwa v37, v41, v60 dst_sel:DWORD dst_unused:UNUSED_PAD src0_sel:WORD_1 src1_sel:DWORD
	v_fma_f16 v26, v42, v62, -v26
	v_fma_f16 v40, v44, v27, v40
	v_mul_f16_sdwa v27, v44, v27 dst_sel:DWORD dst_unused:UNUSED_PAD src0_sel:WORD_1 src1_sel:DWORD
	v_add_f16_e32 v42, v12, v67
	v_fma_f16 v12, v43, -0.5, v12
	v_sub_f16_e32 v43, v8, v16
	v_lshrrev_b32_e32 v66, 16, v29
	v_fma_f16 v37, v41, v23, v37
	v_mul_f16_sdwa v23, v41, v23 dst_sel:DWORD dst_unused:UNUSED_PAD src0_sel:WORD_1 src1_sel:DWORD
	v_fma_f16 v27, v44, v65, -v27
	v_fma_f16 v44, v43, s0, v12
	v_fma_f16 v12, v43, s1, v12
	v_add_f16_e32 v43, v5, v8
	v_add_f16_e32 v8, v8, v16
	v_fma_f16 v23, v41, v60, -v23
	v_mul_f16_sdwa v41, v45, v66 dst_sel:DWORD dst_unused:UNUSED_PAD src0_sel:WORD_1 src1_sel:DWORD
	v_add_f16_e32 v43, v43, v16
	v_fma_f16 v5, v8, -0.5, v5
	v_sub_f16_e32 v8, v67, v14
	v_add_f16_e32 v16, v30, v32
	v_lshrrev_b32_e32 v31, 16, v13
	v_fma_f16 v41, v45, v29, v41
	v_mul_f16_sdwa v29, v45, v29 dst_sel:DWORD dst_unused:UNUSED_PAD src0_sel:WORD_1 src1_sel:DWORD
	v_add_f16_e32 v42, v42, v14
	v_fma_f16 v14, v8, s1, v5
	v_fma_f16 v5, v8, s0, v5
	v_add_f16_e32 v8, v13, v30
	v_fma_f16 v13, v16, -0.5, v13
	v_sub_f16_e32 v16, v15, v17
	v_fma_f16 v29, v45, v66, -v29
	v_fma_f16 v45, v16, s0, v13
	v_fma_f16 v13, v16, s1, v13
	v_add_f16_e32 v16, v31, v15
	v_add_f16_e32 v15, v15, v17
	;; [unrolled: 1-line block ×3, first 2 shown]
	v_fma_f16 v15, v15, -0.5, v31
	v_sub_f16_e32 v17, v30, v32
	v_add_f16_e32 v31, v33, v35
	v_lshrrev_b32_e32 v34, 16, v18
	v_fma_f16 v30, v17, s1, v15
	v_fma_f16 v15, v17, s0, v15
	v_add_f16_e32 v17, v18, v33
	v_fma_f16 v18, v31, -0.5, v18
	v_sub_f16_e32 v31, v20, v22
	v_add_f16_e32 v8, v8, v32
	v_fma_f16 v32, v31, s0, v18
	v_fma_f16 v18, v31, s1, v18
	v_add_f16_e32 v31, v34, v20
	v_add_f16_e32 v20, v20, v22
	v_add_f16_e32 v31, v31, v22
	v_fma_f16 v20, v20, -0.5, v34
	v_sub_f16_e32 v22, v33, v35
	v_add_f16_e32 v34, v36, v37
	v_lshrrev_b32_e32 v58, 16, v19
	v_fma_f16 v33, v22, s1, v20
	v_fma_f16 v20, v22, s0, v20
	v_add_f16_e32 v22, v19, v36
	v_fma_f16 v19, v34, -0.5, v19
	v_sub_f16_e32 v34, v21, v23
	v_add_f16_e32 v17, v17, v35
	v_fma_f16 v35, v34, s0, v19
	v_fma_f16 v19, v34, s1, v19
	v_add_f16_e32 v34, v58, v21
	v_add_f16_e32 v21, v21, v23
	;; [unrolled: 1-line block ×4, first 2 shown]
	v_fma_f16 v21, v21, -0.5, v58
	v_sub_f16_e32 v23, v36, v37
	v_add_f16_e32 v37, v38, v39
	v_lshrrev_b32_e32 v61, 16, v24
	v_fma_f16 v36, v23, s1, v21
	v_fma_f16 v21, v23, s0, v21
	v_add_f16_e32 v23, v24, v38
	v_fma_f16 v24, v37, -0.5, v24
	v_sub_f16_e32 v37, v26, v28
	v_fma_f16 v57, v37, s0, v24
	v_fma_f16 v24, v37, s1, v24
	v_add_f16_e32 v37, v61, v26
	v_add_f16_e32 v26, v26, v28
	;; [unrolled: 1-line block ×4, first 2 shown]
	v_fma_f16 v26, v26, -0.5, v61
	v_sub_f16_e32 v28, v38, v39
	v_add_f16_e32 v39, v40, v41
	v_lshrrev_b32_e32 v64, 16, v25
	v_fma_f16 v38, v28, s1, v26
	v_fma_f16 v26, v28, s0, v26
	v_add_f16_e32 v28, v25, v40
	v_fma_f16 v25, v39, -0.5, v25
	v_sub_f16_e32 v39, v27, v29
	v_fma_f16 v58, v39, s0, v25
	v_fma_f16 v25, v39, s1, v25
	v_add_f16_e32 v39, v64, v27
	v_add_f16_e32 v27, v27, v29
	v_pack_b32_f16 v5, v12, v5
	v_pack_b32_f16 v8, v8, v16
	v_add_f16_e32 v39, v39, v29
	v_fma_f16 v27, v27, -0.5, v64
	v_sub_f16_e32 v29, v40, v41
	s_barrier
	ds_write2_b32 v55, v5, v8 offset0:70 offset1:169
	v_pack_b32_f16 v5, v45, v30
	v_pack_b32_f16 v8, v13, v15
	v_fma_f16 v40, v29, s1, v27
	v_fma_f16 v27, v29, s0, v27
	v_pack_b32_f16 v29, v42, v43
	v_pack_b32_f16 v14, v44, v14
	ds_write2_b32 v52, v5, v8 offset0:140 offset1:239
	v_pack_b32_f16 v5, v17, v31
	v_pack_b32_f16 v8, v32, v33
	v_add_u32_e32 v12, 0x800, v95
	ds_write2_b32 v0, v29, v14 offset1:99
	ds_write2_b32 v12, v5, v8 offset0:82 offset1:181
	v_pack_b32_f16 v5, v18, v20
	ds_write_b32 v95, v5 offset:3168
	v_pack_b32_f16 v5, v22, v34
	v_pack_b32_f16 v8, v35, v36
	v_add_u32_e32 v12, 0xc00, v96
	ds_write2_b32 v12, v5, v8 offset0:123 offset1:222
	v_pack_b32_f16 v5, v19, v21
	ds_write_b32 v96, v5 offset:4356
	v_pack_b32_f16 v5, v23, v37
	v_pack_b32_f16 v8, v57, v38
	v_add_u32_e32 v12, 0x1200, v97
	v_add_f16_e32 v28, v28, v41
	ds_write2_b32 v12, v5, v8 offset0:36 offset1:135
	v_pack_b32_f16 v5, v24, v26
	ds_write_b32 v97, v5 offset:5544
	v_pack_b32_f16 v5, v28, v39
	v_pack_b32_f16 v8, v58, v40
	v_add_u32_e32 v12, 0x1600, v98
	ds_write2_b32 v12, v5, v8 offset0:77 offset1:176
	v_pack_b32_f16 v5, v25, v27
	ds_write_b32 v98, v5 offset:6732
	s_waitcnt lgkmcnt(0)
	s_barrier
	ds_read2_b32 v[12:13], v0 offset1:99
	ds_read2_b32 v[14:15], v9 offset0:82 offset1:181
	ds_read2_b32 v[16:17], v53 offset0:36 offset1:135
	;; [unrolled: 1-line block ×8, first 2 shown]
	s_waitcnt lgkmcnt(8)
	v_lshrrev_b32_e32 v5, 16, v12
	s_waitcnt lgkmcnt(7)
	v_lshrrev_b32_e32 v8, 16, v14
	v_mul_f16_sdwa v57, v46, v8 dst_sel:DWORD dst_unused:UNUSED_PAD src0_sel:WORD_1 src1_sel:DWORD
	s_waitcnt lgkmcnt(6)
	v_lshrrev_b32_e32 v30, 16, v16
	v_fma_f16 v57, v46, v14, v57
	v_mul_f16_sdwa v14, v46, v14 dst_sel:DWORD dst_unused:UNUSED_PAD src0_sel:WORD_1 src1_sel:DWORD
	v_fma_f16 v8, v46, v8, -v14
	v_mul_f16_sdwa v14, v47, v30 dst_sel:DWORD dst_unused:UNUSED_PAD src0_sel:WORD_1 src1_sel:DWORD
	v_lshrrev_b32_e32 v32, 16, v15
	v_fma_f16 v14, v47, v16, v14
	v_mul_f16_sdwa v16, v47, v16 dst_sel:DWORD dst_unused:UNUSED_PAD src0_sel:WORD_1 src1_sel:DWORD
	v_fma_f16 v16, v47, v30, -v16
	v_mul_f16_sdwa v30, v48, v32 dst_sel:DWORD dst_unused:UNUSED_PAD src0_sel:WORD_1 src1_sel:DWORD
	;; [unrolled: 5-line block ×3, first 2 shown]
	s_waitcnt lgkmcnt(4)
	v_lshrrev_b32_e32 v35, 16, v20
	v_fma_f16 v32, v49, v17, v32
	v_mul_f16_sdwa v17, v49, v17 dst_sel:DWORD dst_unused:UNUSED_PAD src0_sel:WORD_1 src1_sel:DWORD
	v_fma_f16 v17, v49, v33, -v17
	v_mul_f16_sdwa v33, v50, v35 dst_sel:DWORD dst_unused:UNUSED_PAD src0_sel:WORD_1 src1_sel:DWORD
	s_waitcnt lgkmcnt(3)
	v_lshrrev_b32_e32 v36, 16, v22
	v_fma_f16 v33, v50, v20, v33
	v_mul_f16_sdwa v20, v50, v20 dst_sel:DWORD dst_unused:UNUSED_PAD src0_sel:WORD_1 src1_sel:DWORD
	v_fma_f16 v20, v50, v35, -v20
	v_mul_f16_sdwa v35, v51, v36 dst_sel:DWORD dst_unused:UNUSED_PAD src0_sel:WORD_1 src1_sel:DWORD
	v_lshrrev_b32_e32 v38, 16, v21
	v_fma_f16 v35, v51, v22, v35
	v_mul_f16_sdwa v22, v51, v22 dst_sel:DWORD dst_unused:UNUSED_PAD src0_sel:WORD_1 src1_sel:DWORD
	v_fma_f16 v22, v51, v36, -v22
	v_mul_f16_sdwa v36, v46, v38 dst_sel:DWORD dst_unused:UNUSED_PAD src0_sel:WORD_1 src1_sel:DWORD
	;; [unrolled: 5-line block ×3, first 2 shown]
	s_waitcnt lgkmcnt(1)
	v_lshrrev_b32_e32 v41, 16, v26
	v_fma_f16 v38, v47, v23, v38
	v_mul_f16_sdwa v23, v47, v23 dst_sel:DWORD dst_unused:UNUSED_PAD src0_sel:WORD_1 src1_sel:DWORD
	v_fma_f16 v23, v47, v39, -v23
	v_mul_f16_sdwa v39, v48, v41 dst_sel:DWORD dst_unused:UNUSED_PAD src0_sel:WORD_1 src1_sel:DWORD
	s_waitcnt lgkmcnt(0)
	v_lshrrev_b32_e32 v42, 16, v28
	v_fma_f16 v39, v48, v26, v39
	v_mul_f16_sdwa v26, v48, v26 dst_sel:DWORD dst_unused:UNUSED_PAD src0_sel:WORD_1 src1_sel:DWORD
	v_fma_f16 v26, v48, v41, -v26
	v_mul_f16_sdwa v41, v49, v42 dst_sel:DWORD dst_unused:UNUSED_PAD src0_sel:WORD_1 src1_sel:DWORD
	v_lshrrev_b32_e32 v44, 16, v27
	v_fma_f16 v41, v49, v28, v41
	v_mul_f16_sdwa v28, v49, v28 dst_sel:DWORD dst_unused:UNUSED_PAD src0_sel:WORD_1 src1_sel:DWORD
	v_fma_f16 v28, v49, v42, -v28
	v_mul_f16_sdwa v42, v50, v44 dst_sel:DWORD dst_unused:UNUSED_PAD src0_sel:WORD_1 src1_sel:DWORD
	;; [unrolled: 5-line block ×3, first 2 shown]
	v_fma_f16 v44, v51, v29, v44
	v_mul_f16_sdwa v29, v51, v29 dst_sel:DWORD dst_unused:UNUSED_PAD src0_sel:WORD_1 src1_sel:DWORD
	v_add_f16_e32 v46, v57, v14
	v_fma_f16 v29, v51, v45, -v29
	v_add_f16_e32 v45, v12, v57
	v_fma_f16 v12, v46, -0.5, v12
	v_sub_f16_e32 v46, v8, v16
	v_fma_f16 v47, v46, s0, v12
	v_fma_f16 v12, v46, s1, v12
	v_add_f16_e32 v46, v5, v8
	v_add_f16_e32 v8, v8, v16
	;; [unrolled: 1-line block ×3, first 2 shown]
	v_fma_f16 v5, v8, -0.5, v5
	v_sub_f16_e32 v8, v57, v14
	v_add_f16_e32 v16, v30, v32
	v_lshrrev_b32_e32 v31, 16, v13
	v_add_f16_e32 v45, v45, v14
	v_fma_f16 v14, v8, s1, v5
	v_fma_f16 v5, v8, s0, v5
	v_add_f16_e32 v8, v13, v30
	v_fma_f16 v13, v16, -0.5, v13
	v_sub_f16_e32 v16, v15, v17
	v_fma_f16 v48, v16, s0, v13
	v_fma_f16 v13, v16, s1, v13
	v_add_f16_e32 v16, v31, v15
	v_add_f16_e32 v15, v15, v17
	v_add_f16_e32 v16, v16, v17
	v_fma_f16 v15, v15, -0.5, v31
	v_sub_f16_e32 v17, v30, v32
	v_add_f16_e32 v31, v33, v35
	v_lshrrev_b32_e32 v34, 16, v18
	v_fma_f16 v30, v17, s1, v15
	v_fma_f16 v15, v17, s0, v15
	v_add_f16_e32 v17, v18, v33
	v_fma_f16 v18, v31, -0.5, v18
	v_sub_f16_e32 v31, v20, v22
	v_add_f16_e32 v8, v8, v32
	v_fma_f16 v32, v31, s0, v18
	v_fma_f16 v18, v31, s1, v18
	v_add_f16_e32 v31, v34, v20
	v_add_f16_e32 v20, v20, v22
	v_add_f16_e32 v31, v31, v22
	v_fma_f16 v20, v20, -0.5, v34
	v_sub_f16_e32 v22, v33, v35
	v_add_f16_e32 v34, v36, v38
	v_lshrrev_b32_e32 v37, 16, v19
	v_fma_f16 v33, v22, s1, v20
	v_fma_f16 v20, v22, s0, v20
	v_add_f16_e32 v22, v19, v36
	v_fma_f16 v19, v34, -0.5, v19
	v_sub_f16_e32 v34, v21, v23
	v_add_f16_e32 v17, v17, v35
	;; [unrolled: 15-line block ×4, first 2 shown]
	v_fma_f16 v41, v40, s0, v25
	v_fma_f16 v25, v40, s1, v25
	v_add_f16_e32 v40, v43, v27
	v_add_f16_e32 v27, v27, v29
	;; [unrolled: 1-line block ×3, first 2 shown]
	v_fma_f16 v27, v27, -0.5, v43
	v_sub_f16_e32 v29, v42, v44
	v_pack_b32_f16 v5, v12, v5
	v_pack_b32_f16 v12, v13, v15
	v_fma_f16 v42, v29, s1, v27
	v_fma_f16 v27, v29, s0, v27
	s_barrier
	v_pack_b32_f16 v29, v45, v46
	v_pack_b32_f16 v14, v47, v14
	;; [unrolled: 1-line block ×3, first 2 shown]
	ds_write2_b32 v9, v5, v12 offset0:82 offset1:181
	v_pack_b32_f16 v5, v17, v31
	ds_write2_b32 v0, v29, v8 offset1:99
	v_pack_b32_f16 v8, v48, v30
	ds_write2_b32 v55, v5, v14 offset0:70 offset1:169
	v_pack_b32_f16 v5, v32, v33
	ds_write2_b32 v52, v8, v5 offset0:140 offset1:239
	v_pack_b32_f16 v5, v18, v20
	v_pack_b32_f16 v8, v22, v34
	v_add_f16_e32 v28, v28, v44
	ds_write2_b32 v54, v5, v8 offset0:24 offset1:123
	v_pack_b32_f16 v5, v35, v36
	v_pack_b32_f16 v13, v38, v39
	;; [unrolled: 1-line block ×3, first 2 shown]
	ds_write2_b32 v53, v5, v13 offset0:36 offset1:135
	v_pack_b32_f16 v13, v28, v40
	v_pack_b32_f16 v8, v19, v21
	ds_write2_b32 v11, v12, v13 offset0:94 offset1:193
	v_pack_b32_f16 v12, v41, v42
	v_pack_b32_f16 v5, v24, v26
	ds_write2_b32 v10, v12, v8 offset0:106 offset1:205
	v_pack_b32_f16 v8, v25, v27
	ds_write2_b32 v56, v5, v8 offset0:48 offset1:147
	s_waitcnt lgkmcnt(0)
	s_barrier
	ds_read2_b32 v[12:13], v0 offset1:99
	ds_read2_b32 v[14:15], v54 offset0:24 offset1:123
	ds_read2_b32 v[16:17], v11 offset0:94 offset1:193
	;; [unrolled: 1-line block ×7, first 2 shown]
	s_waitcnt lgkmcnt(6)
	v_lshrrev_b32_e32 v30, 16, v15
	v_mul_f16_sdwa v47, v99, v30 dst_sel:DWORD dst_unused:UNUSED_PAD src0_sel:WORD_1 src1_sel:DWORD
	s_waitcnt lgkmcnt(5)
	v_lshrrev_b32_e32 v32, 16, v16
	v_fma_f16 v47, v99, v15, v47
	v_mul_f16_sdwa v15, v99, v15 dst_sel:DWORD dst_unused:UNUSED_PAD src0_sel:WORD_1 src1_sel:DWORD
	v_fma_f16 v15, v99, v30, -v15
	v_mul_f16_sdwa v30, v100, v32 dst_sel:DWORD dst_unused:UNUSED_PAD src0_sel:WORD_1 src1_sel:DWORD
	v_lshrrev_b32_e32 v34, 16, v17
	v_fma_f16 v30, v100, v16, v30
	v_mul_f16_sdwa v16, v100, v16 dst_sel:DWORD dst_unused:UNUSED_PAD src0_sel:WORD_1 src1_sel:DWORD
	v_fma_f16 v16, v100, v32, -v16
	v_mul_f16_sdwa v32, v101, v34 dst_sel:DWORD dst_unused:UNUSED_PAD src0_sel:WORD_1 src1_sel:DWORD
	s_waitcnt lgkmcnt(3)
	v_lshrrev_b32_e32 v36, 16, v20
	v_fma_f16 v32, v101, v17, v32
	v_mul_f16_sdwa v17, v101, v17 dst_sel:DWORD dst_unused:UNUSED_PAD src0_sel:WORD_1 src1_sel:DWORD
	v_fma_f16 v17, v101, v34, -v17
	v_mul_f16_sdwa v34, v102, v36 dst_sel:DWORD dst_unused:UNUSED_PAD src0_sel:WORD_1 src1_sel:DWORD
	v_lshrrev_b32_e32 v38, 16, v21
	v_fma_f16 v34, v102, v20, v34
	v_mul_f16_sdwa v20, v102, v20 dst_sel:DWORD dst_unused:UNUSED_PAD src0_sel:WORD_1 src1_sel:DWORD
	ds_read2_b32 v[28:29], v56 offset0:48 offset1:147
	v_fma_f16 v20, v102, v36, -v20
	v_mul_f16_sdwa v36, v103, v38 dst_sel:DWORD dst_unused:UNUSED_PAD src0_sel:WORD_1 src1_sel:DWORD
	s_waitcnt lgkmcnt(2)
	v_lshrrev_b32_e32 v40, 16, v24
	v_fma_f16 v36, v103, v21, v36
	v_mul_f16_sdwa v21, v103, v21 dst_sel:DWORD dst_unused:UNUSED_PAD src0_sel:WORD_1 src1_sel:DWORD
	v_fma_f16 v21, v103, v38, -v21
	v_mul_f16_sdwa v38, v104, v40 dst_sel:DWORD dst_unused:UNUSED_PAD src0_sel:WORD_1 src1_sel:DWORD
	v_lshrrev_b32_e32 v42, 16, v25
	v_fma_f16 v38, v104, v24, v38
	v_mul_f16_sdwa v24, v104, v24 dst_sel:DWORD dst_unused:UNUSED_PAD src0_sel:WORD_1 src1_sel:DWORD
	v_fma_f16 v24, v104, v40, -v24
	v_mul_f16_sdwa v40, v105, v42 dst_sel:DWORD dst_unused:UNUSED_PAD src0_sel:WORD_1 src1_sel:DWORD
	s_waitcnt lgkmcnt(0)
	v_lshrrev_b32_e32 v44, 16, v28
	v_fma_f16 v40, v105, v25, v40
	v_mul_f16_sdwa v25, v105, v25 dst_sel:DWORD dst_unused:UNUSED_PAD src0_sel:WORD_1 src1_sel:DWORD
	v_fma_f16 v25, v105, v42, -v25
	v_mul_f16_sdwa v42, v106, v44 dst_sel:DWORD dst_unused:UNUSED_PAD src0_sel:WORD_1 src1_sel:DWORD
	v_lshrrev_b32_e32 v46, 16, v29
	v_fma_f16 v42, v106, v28, v42
	v_mul_f16_sdwa v28, v106, v28 dst_sel:DWORD dst_unused:UNUSED_PAD src0_sel:WORD_1 src1_sel:DWORD
	v_fma_f16 v28, v106, v44, -v28
	v_mul_f16_sdwa v44, v107, v46 dst_sel:DWORD dst_unused:UNUSED_PAD src0_sel:WORD_1 src1_sel:DWORD
	v_lshrrev_b32_e32 v5, 16, v12
	v_lshrrev_b32_e32 v31, 16, v13
	v_fma_f16 v44, v107, v29, v44
	v_mul_f16_sdwa v29, v107, v29 dst_sel:DWORD dst_unused:UNUSED_PAD src0_sel:WORD_1 src1_sel:DWORD
	v_fma_f16 v29, v107, v46, -v29
	v_sub_f16_e32 v46, v12, v47
	v_sub_f16_e32 v15, v5, v15
	;; [unrolled: 1-line block ×4, first 2 shown]
	v_lshrrev_b32_e32 v33, 16, v18
	v_lshrrev_b32_e32 v35, 16, v19
	v_fma_f16 v12, v12, 2.0, -v46
	v_fma_f16 v5, v5, 2.0, -v15
	v_fma_f16 v13, v13, 2.0, -v30
	v_fma_f16 v31, v31, 2.0, -v16
	v_sub_f16_e32 v32, v18, v32
	v_sub_f16_e32 v17, v33, v17
	;; [unrolled: 1-line block ×4, first 2 shown]
	v_pack_b32_f16 v5, v12, v5
	v_pack_b32_f16 v13, v13, v31
	v_lshrrev_b32_e32 v37, 16, v22
	v_lshrrev_b32_e32 v39, 16, v23
	v_fma_f16 v18, v18, 2.0, -v32
	v_fma_f16 v33, v33, 2.0, -v17
	;; [unrolled: 1-line block ×4, first 2 shown]
	v_pack_b32_f16 v12, v46, v15
	ds_write2_b32 v0, v5, v13 offset1:99
	v_pack_b32_f16 v5, v30, v16
	v_pack_b32_f16 v15, v32, v17
	v_sub_f16_e32 v36, v22, v36
	v_sub_f16_e32 v21, v37, v21
	v_sub_f16_e32 v38, v23, v38
	v_sub_f16_e32 v24, v39, v24
	v_pack_b32_f16 v13, v18, v33
	ds_write2_b32 v11, v5, v15 offset0:94 offset1:193
	v_pack_b32_f16 v5, v19, v35
	v_lshrrev_b32_e32 v41, 16, v26
	v_lshrrev_b32_e32 v43, 16, v27
	v_fma_f16 v22, v22, 2.0, -v36
	v_fma_f16 v37, v37, 2.0, -v21
	;; [unrolled: 1-line block ×4, first 2 shown]
	ds_write2_b32 v55, v13, v5 offset0:70 offset1:169
	v_pack_b32_f16 v5, v34, v20
	v_pack_b32_f16 v15, v36, v21
	v_lshrrev_b32_e32 v45, 16, v14
	v_sub_f16_e32 v40, v26, v40
	v_sub_f16_e32 v25, v41, v25
	;; [unrolled: 1-line block ×4, first 2 shown]
	v_pack_b32_f16 v13, v22, v37
	ds_write2_b32 v53, v5, v15 offset0:36 offset1:135
	v_pack_b32_f16 v5, v23, v39
	v_fma_f16 v26, v26, 2.0, -v40
	v_fma_f16 v41, v41, 2.0, -v25
	v_fma_f16 v27, v27, 2.0, -v42
	v_fma_f16 v43, v43, 2.0, -v28
	v_sub_f16_e32 v44, v14, v44
	v_sub_f16_e32 v29, v45, v29
	ds_write2_b32 v52, v13, v5 offset0:140 offset1:239
	v_pack_b32_f16 v5, v38, v24
	v_pack_b32_f16 v15, v40, v25
	v_fma_f16 v14, v14, 2.0, -v44
	v_fma_f16 v45, v45, 2.0, -v29
	v_pack_b32_f16 v13, v26, v41
	ds_write2_b32 v10, v5, v15 offset0:106 offset1:205
	v_pack_b32_f16 v5, v27, v43
	ds_write2_b32 v9, v13, v5 offset0:82 offset1:181
	v_pack_b32_f16 v9, v14, v45
	v_pack_b32_f16 v5, v42, v28
	ds_write2_b32 v54, v9, v12 offset0:24 offset1:123
	v_pack_b32_f16 v9, v44, v29
	ds_write2_b32 v56, v5, v9 offset0:48 offset1:147
	s_waitcnt lgkmcnt(0)
	s_barrier
	ds_read2_b32 v[12:13], v0 offset1:162
	v_mad_u64_u32 v[14:15], s[0:1], s6, v6, 0
	v_mov_b32_e32 v16, v15
	v_mad_u64_u32 v[16:17], s[0:1], s7, v6, v[16:17]
	s_waitcnt lgkmcnt(0)
	v_lshrrev_b32_e32 v5, 16, v12
	v_mul_f16_sdwa v15, v76, v5 dst_sel:DWORD dst_unused:UNUSED_PAD src0_sel:WORD_1 src1_sel:DWORD
	v_fma_f16 v15, v76, v12, v15
	v_cvt_f32_f16_e32 v18, v15
	s_mov_b32 s6, 0x7210aa18
	v_mov_b32_e32 v15, v16
	s_mov_b32 s7, 0x3f426369
	v_cvt_f64_f32_e32 v[16:17], v18
	v_mul_f64 v[16:17], v[16:17], s[6:7]
	s_movk_i32 s13, 0x1ff
	v_and_or_b32 v6, v17, s13, v16
	v_cmp_ne_u32_e64 s[0:1], 0, v6
	v_lshrrev_b32_e32 v16, 8, v17
	s_movk_i32 s12, 0xffe
	v_cndmask_b32_e64 v6, 0, 1, s[0:1]
	v_bfe_u32 v18, v17, 20, 11
	v_and_or_b32 v16, v16, s12, v6
	v_sub_u32_e32 v19, 0x3f1, v18
	v_or_b32_e32 v6, 0x1000, v16
	v_med3_i32 v19, v19, 0, 13
	v_lshrrev_b32_e32 v20, v19, v6
	v_lshlrev_b32_e32 v19, v19, v20
	v_cmp_ne_u32_e64 s[0:1], v19, v6
	v_add_u32_e32 v18, 0xfffffc10, v18
	v_lshl_or_b32 v19, v18, 12, v16
	v_cndmask_b32_e64 v6, 0, 1, s[0:1]
	v_or_b32_e32 v6, v20, v6
	v_cmp_gt_i32_e64 s[0:1], 1, v18
	v_mov_b32_e32 v8, s2
	v_mov_b32_e32 v9, s3
	v_cndmask_b32_e64 v6, v19, v6, s[0:1]
	v_and_b32_e32 v19, 7, v6
	v_cmp_lt_i32_e64 s[0:1], 5, v19
	v_cmp_eq_u32_e64 s[2:3], 3, v19
	v_lshrrev_b32_e32 v6, 2, v6
	s_or_b64 s[0:1], s[2:3], s[0:1]
	v_mul_f16_sdwa v12, v76, v12 dst_sel:DWORD dst_unused:UNUSED_PAD src0_sel:WORD_1 src1_sel:DWORD
	v_addc_co_u32_e64 v19, s[0:1], 0, v6, s[0:1]
	v_fma_f16 v5, v76, v5, -v12
	v_mov_b32_e32 v6, 0x7c00
	v_cmp_gt_i32_e64 s[0:1], 31, v18
	v_cvt_f32_f16_e32 v5, v5
	s_movk_i32 s10, 0x40f
	v_cndmask_b32_e64 v19, v6, v19, s[0:1]
	v_cmp_ne_u32_e64 s[0:1], 0, v16
	s_mov_b32 s11, 0x8000
	s_movk_i32 s15, 0x1000
	v_cndmask_b32_e64 v16, 0, 1, s[0:1]
	v_lshl_or_b32 v16, v16, 9, v6
	v_cmp_eq_u32_e64 s[0:1], s10, v18
	s_nop 1
	v_cndmask_b32_e64 v18, v19, v16, s[0:1]
	v_and_b32_sdwa v19, v17, s11 dst_sel:DWORD dst_unused:UNUSED_PAD src0_sel:WORD_1 src1_sel:DWORD
	v_cvt_f64_f32_e32 v[16:17], v5
	v_mul_f64 v[16:17], v[16:17], s[6:7]
	v_and_or_b32 v5, v17, s13, v16
	v_cmp_ne_u32_e64 s[0:1], 0, v5
	v_lshrrev_b32_e32 v12, 8, v17
	v_bfe_u32 v16, v17, 20, 11
	v_cndmask_b32_e64 v5, 0, 1, s[0:1]
	v_and_or_b32 v5, v12, s12, v5
	v_sub_u32_e32 v20, 0x3f1, v16
	v_or_b32_e32 v12, 0x1000, v5
	v_med3_i32 v20, v20, 0, 13
	v_lshrrev_b32_e32 v21, v20, v12
	v_lshlrev_b32_e32 v20, v20, v21
	v_cmp_ne_u32_e64 s[0:1], v20, v12
	v_add_u32_e32 v16, 0xfffffc10, v16
	v_lshl_or_b32 v20, v16, 12, v5
	v_cndmask_b32_e64 v12, 0, 1, s[0:1]
	v_or_b32_e32 v12, v21, v12
	v_cmp_gt_i32_e64 s[0:1], 1, v16
	s_nop 1
	v_cndmask_b32_e64 v12, v20, v12, s[0:1]
	v_and_b32_e32 v20, 7, v12
	v_cmp_lt_i32_e64 s[0:1], 5, v20
	v_cmp_eq_u32_e64 s[2:3], 3, v20
	v_lshrrev_b32_e32 v12, 2, v12
	s_or_b64 s[0:1], s[2:3], s[0:1]
	v_addc_co_u32_e64 v12, s[0:1], 0, v12, s[0:1]
	v_cmp_gt_i32_e64 s[0:1], 31, v16
	s_nop 1
	v_cndmask_b32_e64 v12, v6, v12, s[0:1]
	v_cmp_ne_u32_e64 s[0:1], 0, v5
	s_nop 1
	v_cndmask_b32_e64 v5, 0, 1, s[0:1]
	v_lshl_or_b32 v5, v5, 9, v6
	v_cmp_eq_u32_e64 s[0:1], s10, v16
	s_nop 1
	v_cndmask_b32_e64 v5, v12, v5, s[0:1]
	v_lshrrev_b32_e32 v12, 16, v17
	v_mad_u64_u32 v[16:17], s[0:1], s4, v4, 0
	v_and_or_b32 v20, v12, s11, v5
	v_mov_b32_e32 v12, v17
	v_mad_u64_u32 v[4:5], s[0:1], s5, v4, v[12:13]
	v_mov_b32_e32 v17, v4
	v_bitop3_b32 v4, v19, s14, v18 bitop3:0xc8
	v_lshrrev_b32_e32 v18, 16, v13
	v_lshl_or_b32 v12, v20, 16, v4
	v_mul_f16_sdwa v4, v75, v18 dst_sel:DWORD dst_unused:UNUSED_PAD src0_sel:WORD_1 src1_sel:DWORD
	v_fma_f16 v4, v75, v13, v4
	v_cvt_f32_f16_e32 v19, v4
	v_lshl_add_u64 v[4:5], v[14:15], 2, v[8:9]
	v_lshl_add_u64 v[4:5], v[16:17], 2, v[4:5]
	global_store_dword v[4:5], v12, off
	v_cvt_f64_f32_e32 v[8:9], v19
	v_mul_f64 v[8:9], v[8:9], s[6:7]
	v_and_or_b32 v8, v9, s13, v8
	v_cmp_ne_u32_e64 s[0:1], 0, v8
	v_lshrrev_b32_e32 v12, 8, v9
	v_bfe_u32 v14, v9, 20, 11
	v_cndmask_b32_e64 v8, 0, 1, s[0:1]
	v_and_or_b32 v8, v12, s12, v8
	v_sub_u32_e32 v15, 0x3f1, v14
	v_or_b32_e32 v12, 0x1000, v8
	v_med3_i32 v15, v15, 0, 13
	v_lshrrev_b32_e32 v16, v15, v12
	v_lshlrev_b32_e32 v15, v15, v16
	v_cmp_ne_u32_e64 s[0:1], v15, v12
	v_add_u32_e32 v14, 0xfffffc10, v14
	v_lshl_or_b32 v15, v14, 12, v8
	v_cndmask_b32_e64 v12, 0, 1, s[0:1]
	v_or_b32_e32 v12, v16, v12
	v_cmp_gt_i32_e64 s[0:1], 1, v14
	v_mul_f16_sdwa v13, v75, v13 dst_sel:DWORD dst_unused:UNUSED_PAD src0_sel:WORD_1 src1_sel:DWORD
	v_fma_f16 v13, v75, v18, -v13
	v_cndmask_b32_e64 v12, v15, v12, s[0:1]
	v_and_b32_e32 v15, 7, v12
	v_cmp_lt_i32_e64 s[0:1], 5, v15
	v_cmp_eq_u32_e64 s[2:3], 3, v15
	v_lshrrev_b32_e32 v12, 2, v12
	s_or_b64 s[0:1], s[2:3], s[0:1]
	v_addc_co_u32_e64 v12, s[0:1], 0, v12, s[0:1]
	v_cmp_gt_i32_e64 s[0:1], 31, v14
	v_cvt_f32_f16_e32 v13, v13
	s_nop 0
	v_cndmask_b32_e64 v12, v6, v12, s[0:1]
	v_cmp_ne_u32_e64 s[0:1], 0, v8
	s_nop 1
	v_cndmask_b32_e64 v8, 0, 1, s[0:1]
	v_lshl_or_b32 v8, v8, 9, v6
	v_cmp_eq_u32_e64 s[0:1], s10, v14
	v_and_b32_sdwa v14, v9, s11 dst_sel:DWORD dst_unused:UNUSED_PAD src0_sel:WORD_1 src1_sel:DWORD
	s_nop 0
	v_cndmask_b32_e64 v12, v12, v8, s[0:1]
	v_cvt_f64_f32_e32 v[8:9], v13
	v_mul_f64 v[8:9], v[8:9], s[6:7]
	v_and_or_b32 v8, v9, s13, v8
	v_cmp_ne_u32_e64 s[0:1], 0, v8
	v_lshrrev_b32_e32 v13, 8, v9
	v_bfe_u32 v15, v9, 20, 11
	v_cndmask_b32_e64 v8, 0, 1, s[0:1]
	v_and_or_b32 v8, v13, s12, v8
	v_sub_u32_e32 v16, 0x3f1, v15
	v_or_b32_e32 v13, 0x1000, v8
	v_med3_i32 v16, v16, 0, 13
	v_lshrrev_b32_e32 v17, v16, v13
	v_lshlrev_b32_e32 v16, v16, v17
	v_cmp_ne_u32_e64 s[0:1], v16, v13
	v_add_u32_e32 v15, 0xfffffc10, v15
	v_lshl_or_b32 v16, v15, 12, v8
	v_cndmask_b32_e64 v13, 0, 1, s[0:1]
	v_or_b32_e32 v13, v17, v13
	v_cmp_gt_i32_e64 s[0:1], 1, v15
	v_lshrrev_b32_e32 v9, 16, v9
	v_bitop3_b32 v12, v14, s14, v12 bitop3:0xc8
	v_cndmask_b32_e64 v13, v16, v13, s[0:1]
	v_and_b32_e32 v16, 7, v13
	v_cmp_lt_i32_e64 s[0:1], 5, v16
	v_cmp_eq_u32_e64 s[2:3], 3, v16
	v_lshrrev_b32_e32 v13, 2, v13
	s_or_b64 s[0:1], s[2:3], s[0:1]
	v_addc_co_u32_e64 v13, s[0:1], 0, v13, s[0:1]
	v_cmp_gt_i32_e64 s[0:1], 31, v15
	s_nop 1
	v_cndmask_b32_e64 v13, v6, v13, s[0:1]
	v_cmp_ne_u32_e64 s[0:1], 0, v8
	s_nop 1
	v_cndmask_b32_e64 v8, 0, 1, s[0:1]
	v_lshl_or_b32 v8, v8, 9, v6
	v_cmp_eq_u32_e64 s[0:1], s10, v15
	s_nop 1
	v_cndmask_b32_e64 v8, v13, v8, s[0:1]
	v_and_or_b32 v13, v9, s11, v8
	ds_read2_b32 v[8:9], v52 offset0:68 offset1:230
	v_lshl_or_b32 v12, v13, 16, v12
	s_mul_i32 s0, s5, 0xa2
	s_mul_hi_u32 s1, s4, 0xa2
	s_add_i32 s1, s1, s0
	s_waitcnt lgkmcnt(0)
	v_lshrrev_b32_e32 v14, 16, v8
	v_mul_f16_sdwa v13, v74, v14 dst_sel:DWORD dst_unused:UNUSED_PAD src0_sel:WORD_1 src1_sel:DWORD
	v_fma_f16 v13, v74, v8, v13
	v_cvt_f32_f16_e32 v13, v13
	s_mul_i32 s0, s4, 0xa2
	s_lshl_b64 s[8:9], s[0:1], 2
	v_lshl_add_u64 v[4:5], v[4:5], 0, s[8:9]
	global_store_dword v[4:5], v12, off
	v_cvt_f64_f32_e32 v[12:13], v13
	v_mul_f64 v[12:13], v[12:13], s[6:7]
	v_and_or_b32 v12, v13, s13, v12
	v_cmp_ne_u32_e64 s[0:1], 0, v12
	v_lshrrev_b32_e32 v15, 8, v13
	v_bfe_u32 v16, v13, 20, 11
	v_cndmask_b32_e64 v12, 0, 1, s[0:1]
	v_and_or_b32 v12, v15, s12, v12
	v_sub_u32_e32 v17, 0x3f1, v16
	v_or_b32_e32 v15, 0x1000, v12
	v_med3_i32 v17, v17, 0, 13
	v_lshrrev_b32_e32 v18, v17, v15
	v_lshlrev_b32_e32 v17, v17, v18
	v_cmp_ne_u32_e64 s[0:1], v17, v15
	v_add_u32_e32 v16, 0xfffffc10, v16
	v_lshl_or_b32 v17, v16, 12, v12
	v_cndmask_b32_e64 v15, 0, 1, s[0:1]
	v_or_b32_e32 v15, v18, v15
	v_cmp_gt_i32_e64 s[0:1], 1, v16
	v_mul_f16_sdwa v8, v74, v8 dst_sel:DWORD dst_unused:UNUSED_PAD src0_sel:WORD_1 src1_sel:DWORD
	v_fma_f16 v8, v74, v14, -v8
	v_cndmask_b32_e64 v15, v17, v15, s[0:1]
	v_and_b32_e32 v17, 7, v15
	v_cmp_lt_i32_e64 s[0:1], 5, v17
	v_cmp_eq_u32_e64 s[2:3], 3, v17
	v_lshrrev_b32_e32 v15, 2, v15
	s_or_b64 s[0:1], s[2:3], s[0:1]
	v_addc_co_u32_e64 v15, s[0:1], 0, v15, s[0:1]
	v_cmp_gt_i32_e64 s[0:1], 31, v16
	v_cvt_f32_f16_e32 v8, v8
	v_lshl_add_u64 v[4:5], v[4:5], 0, s[8:9]
	v_cndmask_b32_e64 v15, v6, v15, s[0:1]
	v_cmp_ne_u32_e64 s[0:1], 0, v12
	s_nop 1
	v_cndmask_b32_e64 v12, 0, 1, s[0:1]
	v_lshl_or_b32 v12, v12, 9, v6
	v_cmp_eq_u32_e64 s[0:1], s10, v16
	s_nop 1
	v_cndmask_b32_e64 v14, v15, v12, s[0:1]
	v_and_b32_sdwa v15, v13, s11 dst_sel:DWORD dst_unused:UNUSED_PAD src0_sel:WORD_1 src1_sel:DWORD
	v_cvt_f64_f32_e32 v[12:13], v8
	v_mul_f64 v[12:13], v[12:13], s[6:7]
	v_and_or_b32 v8, v13, s13, v12
	v_cmp_ne_u32_e64 s[0:1], 0, v8
	v_lshrrev_b32_e32 v12, 8, v13
	v_bfe_u32 v16, v13, 20, 11
	v_cndmask_b32_e64 v8, 0, 1, s[0:1]
	v_and_or_b32 v8, v12, s12, v8
	v_sub_u32_e32 v17, 0x3f1, v16
	v_or_b32_e32 v12, 0x1000, v8
	v_med3_i32 v17, v17, 0, 13
	v_lshrrev_b32_e32 v18, v17, v12
	v_lshlrev_b32_e32 v17, v17, v18
	v_cmp_ne_u32_e64 s[0:1], v17, v12
	v_add_u32_e32 v16, 0xfffffc10, v16
	v_lshl_or_b32 v17, v16, 12, v8
	v_cndmask_b32_e64 v12, 0, 1, s[0:1]
	v_or_b32_e32 v12, v18, v12
	v_cmp_gt_i32_e64 s[0:1], 1, v16
	s_nop 1
	v_cndmask_b32_e64 v12, v17, v12, s[0:1]
	v_and_b32_e32 v17, 7, v12
	v_cmp_lt_i32_e64 s[0:1], 5, v17
	v_cmp_eq_u32_e64 s[2:3], 3, v17
	v_lshrrev_b32_e32 v12, 2, v12
	s_or_b64 s[0:1], s[2:3], s[0:1]
	v_addc_co_u32_e64 v12, s[0:1], 0, v12, s[0:1]
	v_cmp_gt_i32_e64 s[0:1], 31, v16
	s_nop 1
	v_cndmask_b32_e64 v12, v6, v12, s[0:1]
	v_cmp_ne_u32_e64 s[0:1], 0, v8
	s_nop 1
	v_cndmask_b32_e64 v8, 0, 1, s[0:1]
	v_lshl_or_b32 v8, v8, 9, v6
	v_cmp_eq_u32_e64 s[0:1], s10, v16
	s_nop 1
	v_cndmask_b32_e64 v8, v12, v8, s[0:1]
	v_lshrrev_b32_e32 v12, 16, v13
	v_and_or_b32 v8, v12, s11, v8
	v_bitop3_b32 v12, v15, s14, v14 bitop3:0xc8
	v_lshrrev_b32_e32 v14, 16, v9
	v_mul_f16_sdwa v13, v73, v14 dst_sel:DWORD dst_unused:UNUSED_PAD src0_sel:WORD_1 src1_sel:DWORD
	v_fma_f16 v13, v73, v9, v13
	v_cvt_f32_f16_e32 v13, v13
	v_lshl_or_b32 v8, v8, 16, v12
	global_store_dword v[4:5], v8, off
	v_mul_f16_sdwa v9, v73, v9 dst_sel:DWORD dst_unused:UNUSED_PAD src0_sel:WORD_1 src1_sel:DWORD
	v_cvt_f64_f32_e32 v[12:13], v13
	v_mul_f64 v[12:13], v[12:13], s[6:7]
	v_and_or_b32 v8, v13, s13, v12
	v_cmp_ne_u32_e64 s[0:1], 0, v8
	v_lshrrev_b32_e32 v12, 8, v13
	v_bfe_u32 v15, v13, 20, 11
	v_cndmask_b32_e64 v8, 0, 1, s[0:1]
	v_and_or_b32 v8, v12, s12, v8
	v_sub_u32_e32 v16, 0x3f1, v15
	v_or_b32_e32 v12, 0x1000, v8
	v_med3_i32 v16, v16, 0, 13
	v_lshrrev_b32_e32 v17, v16, v12
	v_lshlrev_b32_e32 v16, v16, v17
	v_cmp_ne_u32_e64 s[0:1], v16, v12
	v_add_u32_e32 v15, 0xfffffc10, v15
	v_lshl_or_b32 v16, v15, 12, v8
	v_cndmask_b32_e64 v12, 0, 1, s[0:1]
	v_or_b32_e32 v12, v17, v12
	v_cmp_gt_i32_e64 s[0:1], 1, v15
	v_fma_f16 v9, v73, v14, -v9
	v_cvt_f32_f16_e32 v9, v9
	v_cndmask_b32_e64 v12, v16, v12, s[0:1]
	v_and_b32_e32 v16, 7, v12
	v_cmp_lt_i32_e64 s[0:1], 5, v16
	v_cmp_eq_u32_e64 s[2:3], 3, v16
	v_lshrrev_b32_e32 v12, 2, v12
	s_or_b64 s[0:1], s[2:3], s[0:1]
	v_addc_co_u32_e64 v12, s[0:1], 0, v12, s[0:1]
	v_cmp_gt_i32_e64 s[0:1], 31, v15
	v_lshl_add_u64 v[4:5], v[4:5], 0, s[8:9]
	s_nop 0
	v_cndmask_b32_e64 v12, v6, v12, s[0:1]
	v_cmp_ne_u32_e64 s[0:1], 0, v8
	s_nop 1
	v_cndmask_b32_e64 v8, 0, 1, s[0:1]
	v_lshl_or_b32 v8, v8, 9, v6
	v_cmp_eq_u32_e64 s[0:1], s10, v15
	v_and_b32_sdwa v15, v13, s11 dst_sel:DWORD dst_unused:UNUSED_PAD src0_sel:WORD_1 src1_sel:DWORD
	s_nop 0
	v_cndmask_b32_e64 v14, v12, v8, s[0:1]
	v_cvt_f64_f32_e32 v[8:9], v9
	v_mul_f64 v[8:9], v[8:9], s[6:7]
	v_and_or_b32 v8, v9, s13, v8
	v_cmp_ne_u32_e64 s[0:1], 0, v8
	v_lshrrev_b32_e32 v12, 8, v9
	v_bfe_u32 v13, v9, 20, 11
	v_cndmask_b32_e64 v8, 0, 1, s[0:1]
	v_and_or_b32 v8, v12, s12, v8
	v_sub_u32_e32 v16, 0x3f1, v13
	v_or_b32_e32 v12, 0x1000, v8
	v_med3_i32 v16, v16, 0, 13
	v_lshrrev_b32_e32 v17, v16, v12
	v_lshlrev_b32_e32 v16, v16, v17
	v_cmp_ne_u32_e64 s[0:1], v16, v12
	v_add_u32_e32 v16, 0xfffffc10, v13
	v_lshl_or_b32 v13, v16, 12, v8
	v_cndmask_b32_e64 v12, 0, 1, s[0:1]
	v_or_b32_e32 v12, v17, v12
	v_cmp_gt_i32_e64 s[0:1], 1, v16
	v_lshrrev_b32_e32 v9, 16, v9
	s_nop 0
	v_cndmask_b32_e64 v12, v13, v12, s[0:1]
	v_and_b32_e32 v13, 7, v12
	v_cmp_lt_i32_e64 s[0:1], 5, v13
	v_cmp_eq_u32_e64 s[2:3], 3, v13
	v_lshrrev_b32_e32 v12, 2, v12
	s_or_b64 s[0:1], s[2:3], s[0:1]
	v_addc_co_u32_e64 v12, s[0:1], 0, v12, s[0:1]
	v_cmp_gt_i32_e64 s[0:1], 31, v16
	s_nop 1
	v_cndmask_b32_e64 v17, v6, v12, s[0:1]
	v_add_u32_e32 v12, 0xa00, v0
	ds_read2_b32 v[12:13], v12 offset0:8 offset1:170
	v_cmp_ne_u32_e64 s[0:1], 0, v8
	s_nop 1
	v_cndmask_b32_e64 v8, 0, 1, s[0:1]
	v_lshl_or_b32 v8, v8, 9, v6
	v_cmp_eq_u32_e64 s[0:1], s10, v16
	s_nop 1
	v_cndmask_b32_e64 v8, v17, v8, s[0:1]
	v_and_or_b32 v8, v9, s11, v8
	v_bitop3_b32 v9, v15, s14, v14 bitop3:0xc8
	s_waitcnt lgkmcnt(0)
	v_lshrrev_b32_e32 v14, 16, v12
	v_mul_f16_sdwa v15, v72, v14 dst_sel:DWORD dst_unused:UNUSED_PAD src0_sel:WORD_1 src1_sel:DWORD
	v_fma_f16 v15, v72, v12, v15
	v_cvt_f32_f16_e32 v15, v15
	v_lshl_or_b32 v8, v8, 16, v9
	global_store_dword v[4:5], v8, off
	v_mul_f16_sdwa v12, v72, v12 dst_sel:DWORD dst_unused:UNUSED_PAD src0_sel:WORD_1 src1_sel:DWORD
	v_cvt_f64_f32_e32 v[8:9], v15
	v_mul_f64 v[8:9], v[8:9], s[6:7]
	v_and_or_b32 v8, v9, s13, v8
	v_cmp_ne_u32_e64 s[0:1], 0, v8
	v_lshrrev_b32_e32 v15, 8, v9
	v_bfe_u32 v16, v9, 20, 11
	v_cndmask_b32_e64 v8, 0, 1, s[0:1]
	v_and_or_b32 v8, v15, s12, v8
	v_sub_u32_e32 v17, 0x3f1, v16
	v_or_b32_e32 v15, 0x1000, v8
	v_med3_i32 v17, v17, 0, 13
	v_lshrrev_b32_e32 v18, v17, v15
	v_lshlrev_b32_e32 v17, v17, v18
	v_cmp_ne_u32_e64 s[0:1], v17, v15
	v_add_u32_e32 v16, 0xfffffc10, v16
	v_lshl_or_b32 v17, v16, 12, v8
	v_cndmask_b32_e64 v15, 0, 1, s[0:1]
	v_or_b32_e32 v15, v18, v15
	v_cmp_gt_i32_e64 s[0:1], 1, v16
	v_fma_f16 v12, v72, v14, -v12
	v_cvt_f32_f16_e32 v12, v12
	v_cndmask_b32_e64 v15, v17, v15, s[0:1]
	v_and_b32_e32 v17, 7, v15
	v_cmp_lt_i32_e64 s[0:1], 5, v17
	v_cmp_eq_u32_e64 s[2:3], 3, v17
	v_lshrrev_b32_e32 v15, 2, v15
	s_or_b64 s[0:1], s[2:3], s[0:1]
	v_addc_co_u32_e64 v15, s[0:1], 0, v15, s[0:1]
	v_cmp_gt_i32_e64 s[0:1], 31, v16
	v_lshl_add_u64 v[4:5], v[4:5], 0, s[8:9]
	s_nop 0
	v_cndmask_b32_e64 v15, v6, v15, s[0:1]
	v_cmp_ne_u32_e64 s[0:1], 0, v8
	s_nop 1
	v_cndmask_b32_e64 v8, 0, 1, s[0:1]
	v_lshl_or_b32 v8, v8, 9, v6
	v_cmp_eq_u32_e64 s[0:1], s10, v16
	s_nop 1
	v_cndmask_b32_e64 v14, v15, v8, s[0:1]
	v_and_b32_sdwa v15, v9, s11 dst_sel:DWORD dst_unused:UNUSED_PAD src0_sel:WORD_1 src1_sel:DWORD
	v_cvt_f64_f32_e32 v[8:9], v12
	v_mul_f64 v[8:9], v[8:9], s[6:7]
	v_and_or_b32 v8, v9, s13, v8
	v_cmp_ne_u32_e64 s[0:1], 0, v8
	v_lshrrev_b32_e32 v12, 8, v9
	v_bfe_u32 v16, v9, 20, 11
	v_cndmask_b32_e64 v8, 0, 1, s[0:1]
	v_and_or_b32 v8, v12, s12, v8
	v_sub_u32_e32 v17, 0x3f1, v16
	v_or_b32_e32 v12, 0x1000, v8
	v_med3_i32 v17, v17, 0, 13
	v_lshrrev_b32_e32 v18, v17, v12
	v_lshlrev_b32_e32 v17, v17, v18
	v_cmp_ne_u32_e64 s[0:1], v17, v12
	v_add_u32_e32 v16, 0xfffffc10, v16
	v_lshl_or_b32 v17, v16, 12, v8
	v_cndmask_b32_e64 v12, 0, 1, s[0:1]
	v_or_b32_e32 v12, v18, v12
	v_cmp_gt_i32_e64 s[0:1], 1, v16
	v_lshrrev_b32_e32 v9, 16, v9
	s_nop 0
	v_cndmask_b32_e64 v12, v17, v12, s[0:1]
	v_and_b32_e32 v17, 7, v12
	v_cmp_lt_i32_e64 s[0:1], 5, v17
	v_cmp_eq_u32_e64 s[2:3], 3, v17
	v_lshrrev_b32_e32 v12, 2, v12
	s_or_b64 s[0:1], s[2:3], s[0:1]
	v_addc_co_u32_e64 v12, s[0:1], 0, v12, s[0:1]
	v_cmp_gt_i32_e64 s[0:1], 31, v16
	s_nop 1
	v_cndmask_b32_e64 v12, v6, v12, s[0:1]
	v_cmp_ne_u32_e64 s[0:1], 0, v8
	s_nop 1
	v_cndmask_b32_e64 v8, 0, 1, s[0:1]
	v_lshl_or_b32 v8, v8, 9, v6
	v_cmp_eq_u32_e64 s[0:1], s10, v16
	s_nop 1
	v_cndmask_b32_e64 v8, v12, v8, s[0:1]
	v_lshrrev_b32_e32 v12, 16, v13
	v_and_or_b32 v8, v9, s11, v8
	v_bitop3_b32 v9, v15, s14, v14 bitop3:0xc8
	v_mul_f16_sdwa v14, v71, v12 dst_sel:DWORD dst_unused:UNUSED_PAD src0_sel:WORD_1 src1_sel:DWORD
	v_fma_f16 v14, v71, v13, v14
	v_cvt_f32_f16_e32 v14, v14
	v_lshl_or_b32 v8, v8, 16, v9
	global_store_dword v[4:5], v8, off
	v_mul_f16_sdwa v13, v71, v13 dst_sel:DWORD dst_unused:UNUSED_PAD src0_sel:WORD_1 src1_sel:DWORD
	v_cvt_f64_f32_e32 v[8:9], v14
	v_mul_f64 v[8:9], v[8:9], s[6:7]
	v_and_or_b32 v8, v9, s13, v8
	v_cmp_ne_u32_e64 s[0:1], 0, v8
	v_lshrrev_b32_e32 v14, 8, v9
	v_bfe_u32 v15, v9, 20, 11
	v_cndmask_b32_e64 v8, 0, 1, s[0:1]
	v_and_or_b32 v8, v14, s12, v8
	v_sub_u32_e32 v16, 0x3f1, v15
	v_or_b32_e32 v14, 0x1000, v8
	v_med3_i32 v16, v16, 0, 13
	v_lshrrev_b32_e32 v17, v16, v14
	v_lshlrev_b32_e32 v16, v16, v17
	v_cmp_ne_u32_e64 s[0:1], v16, v14
	v_add_u32_e32 v15, 0xfffffc10, v15
	v_lshl_or_b32 v16, v15, 12, v8
	v_cndmask_b32_e64 v14, 0, 1, s[0:1]
	v_or_b32_e32 v14, v17, v14
	v_cmp_gt_i32_e64 s[0:1], 1, v15
	v_fma_f16 v12, v71, v12, -v13
	v_cvt_f32_f16_e32 v12, v12
	v_cndmask_b32_e64 v14, v16, v14, s[0:1]
	v_and_b32_e32 v16, 7, v14
	v_cmp_lt_i32_e64 s[0:1], 5, v16
	v_cmp_eq_u32_e64 s[2:3], 3, v16
	v_lshrrev_b32_e32 v14, 2, v14
	s_or_b64 s[0:1], s[2:3], s[0:1]
	v_addc_co_u32_e64 v14, s[0:1], 0, v14, s[0:1]
	v_cmp_gt_i32_e64 s[0:1], 31, v15
	v_lshl_add_u64 v[4:5], v[4:5], 0, s[8:9]
	s_nop 0
	v_cndmask_b32_e64 v14, v6, v14, s[0:1]
	v_cmp_ne_u32_e64 s[0:1], 0, v8
	s_nop 1
	v_cndmask_b32_e64 v8, 0, 1, s[0:1]
	v_lshl_or_b32 v8, v8, 9, v6
	v_cmp_eq_u32_e64 s[0:1], s10, v15
	v_and_b32_sdwa v15, v9, s11 dst_sel:DWORD dst_unused:UNUSED_PAD src0_sel:WORD_1 src1_sel:DWORD
	s_nop 0
	v_cndmask_b32_e64 v14, v14, v8, s[0:1]
	v_cvt_f64_f32_e32 v[8:9], v12
	v_mul_f64 v[8:9], v[8:9], s[6:7]
	v_and_or_b32 v8, v9, s13, v8
	v_cmp_ne_u32_e64 s[0:1], 0, v8
	v_lshrrev_b32_e32 v12, 8, v9
	v_bfe_u32 v13, v9, 20, 11
	v_cndmask_b32_e64 v8, 0, 1, s[0:1]
	v_and_or_b32 v8, v12, s12, v8
	v_sub_u32_e32 v16, 0x3f1, v13
	v_or_b32_e32 v12, 0x1000, v8
	v_med3_i32 v16, v16, 0, 13
	v_lshrrev_b32_e32 v17, v16, v12
	v_lshlrev_b32_e32 v16, v16, v17
	v_cmp_ne_u32_e64 s[0:1], v16, v12
	v_add_u32_e32 v16, 0xfffffc10, v13
	v_lshl_or_b32 v13, v16, 12, v8
	v_cndmask_b32_e64 v12, 0, 1, s[0:1]
	v_or_b32_e32 v12, v17, v12
	v_cmp_gt_i32_e64 s[0:1], 1, v16
	v_lshrrev_b32_e32 v9, 16, v9
	s_nop 0
	v_cndmask_b32_e64 v12, v13, v12, s[0:1]
	v_and_b32_e32 v13, 7, v12
	v_cmp_lt_i32_e64 s[0:1], 5, v13
	v_cmp_eq_u32_e64 s[2:3], 3, v13
	v_lshrrev_b32_e32 v12, 2, v12
	s_or_b64 s[0:1], s[2:3], s[0:1]
	v_addc_co_u32_e64 v12, s[0:1], 0, v12, s[0:1]
	v_cmp_gt_i32_e64 s[0:1], 31, v16
	s_nop 1
	v_cndmask_b32_e64 v17, v6, v12, s[0:1]
	ds_read2_b32 v[12:13], v11 offset0:76 offset1:238
	v_cmp_ne_u32_e64 s[0:1], 0, v8
	s_waitcnt lgkmcnt(0)
	v_lshrrev_b32_e32 v11, 16, v12
	v_cndmask_b32_e64 v8, 0, 1, s[0:1]
	v_lshl_or_b32 v8, v8, 9, v6
	v_cmp_eq_u32_e64 s[0:1], s10, v16
	s_nop 1
	v_cndmask_b32_e64 v8, v17, v8, s[0:1]
	v_and_or_b32 v8, v9, s11, v8
	v_bitop3_b32 v9, v15, s14, v14 bitop3:0xc8
	v_mul_f16_sdwa v14, v70, v11 dst_sel:DWORD dst_unused:UNUSED_PAD src0_sel:WORD_1 src1_sel:DWORD
	v_fma_f16 v14, v70, v12, v14
	v_cvt_f32_f16_e32 v14, v14
	v_lshl_or_b32 v8, v8, 16, v9
	global_store_dword v[4:5], v8, off
	v_mul_f16_sdwa v12, v70, v12 dst_sel:DWORD dst_unused:UNUSED_PAD src0_sel:WORD_1 src1_sel:DWORD
	v_cvt_f64_f32_e32 v[8:9], v14
	v_mul_f64 v[8:9], v[8:9], s[6:7]
	v_and_or_b32 v8, v9, s13, v8
	v_cmp_ne_u32_e64 s[0:1], 0, v8
	v_lshrrev_b32_e32 v14, 8, v9
	v_bfe_u32 v15, v9, 20, 11
	v_cndmask_b32_e64 v8, 0, 1, s[0:1]
	v_and_or_b32 v8, v14, s12, v8
	v_sub_u32_e32 v16, 0x3f1, v15
	v_or_b32_e32 v14, 0x1000, v8
	v_med3_i32 v16, v16, 0, 13
	v_lshrrev_b32_e32 v17, v16, v14
	v_lshlrev_b32_e32 v16, v16, v17
	v_cmp_ne_u32_e64 s[0:1], v16, v14
	v_add_u32_e32 v15, 0xfffffc10, v15
	v_lshl_or_b32 v16, v15, 12, v8
	v_cndmask_b32_e64 v14, 0, 1, s[0:1]
	v_or_b32_e32 v14, v17, v14
	v_cmp_gt_i32_e64 s[0:1], 1, v15
	v_fma_f16 v11, v70, v11, -v12
	v_cvt_f32_f16_e32 v11, v11
	v_cndmask_b32_e64 v14, v16, v14, s[0:1]
	v_and_b32_e32 v16, 7, v14
	v_cmp_lt_i32_e64 s[0:1], 5, v16
	v_cmp_eq_u32_e64 s[2:3], 3, v16
	v_lshrrev_b32_e32 v14, 2, v14
	s_or_b64 s[0:1], s[2:3], s[0:1]
	v_addc_co_u32_e64 v14, s[0:1], 0, v14, s[0:1]
	v_cmp_gt_i32_e64 s[0:1], 31, v15
	v_lshl_add_u64 v[4:5], v[4:5], 0, s[8:9]
	s_nop 0
	v_cndmask_b32_e64 v14, v6, v14, s[0:1]
	v_cmp_ne_u32_e64 s[0:1], 0, v8
	s_nop 1
	v_cndmask_b32_e64 v8, 0, 1, s[0:1]
	v_lshl_or_b32 v8, v8, 9, v6
	v_cmp_eq_u32_e64 s[0:1], s10, v15
	s_nop 1
	v_cndmask_b32_e64 v12, v14, v8, s[0:1]
	v_and_b32_sdwa v14, v9, s11 dst_sel:DWORD dst_unused:UNUSED_PAD src0_sel:WORD_1 src1_sel:DWORD
	v_cvt_f64_f32_e32 v[8:9], v11
	v_mul_f64 v[8:9], v[8:9], s[6:7]
	v_and_or_b32 v8, v9, s13, v8
	v_cmp_ne_u32_e64 s[0:1], 0, v8
	v_lshrrev_b32_e32 v11, 8, v9
	v_bfe_u32 v15, v9, 20, 11
	v_cndmask_b32_e64 v8, 0, 1, s[0:1]
	v_and_or_b32 v8, v11, s12, v8
	v_sub_u32_e32 v16, 0x3f1, v15
	v_or_b32_e32 v11, 0x1000, v8
	v_med3_i32 v16, v16, 0, 13
	v_lshrrev_b32_e32 v17, v16, v11
	v_lshlrev_b32_e32 v16, v16, v17
	v_cmp_ne_u32_e64 s[0:1], v16, v11
	v_add_u32_e32 v15, 0xfffffc10, v15
	v_lshl_or_b32 v16, v15, 12, v8
	v_cndmask_b32_e64 v11, 0, 1, s[0:1]
	v_or_b32_e32 v11, v17, v11
	v_cmp_gt_i32_e64 s[0:1], 1, v15
	v_lshrrev_b32_e32 v9, 16, v9
	s_nop 0
	v_cndmask_b32_e64 v11, v16, v11, s[0:1]
	v_and_b32_e32 v16, 7, v11
	v_cmp_lt_i32_e64 s[0:1], 5, v16
	v_cmp_eq_u32_e64 s[2:3], 3, v16
	v_lshrrev_b32_e32 v11, 2, v11
	s_or_b64 s[0:1], s[2:3], s[0:1]
	v_addc_co_u32_e64 v11, s[0:1], 0, v11, s[0:1]
	v_cmp_gt_i32_e64 s[0:1], 31, v15
	s_nop 1
	v_cndmask_b32_e64 v11, v6, v11, s[0:1]
	v_cmp_ne_u32_e64 s[0:1], 0, v8
	s_nop 1
	v_cndmask_b32_e64 v8, 0, 1, s[0:1]
	v_lshl_or_b32 v8, v8, 9, v6
	v_cmp_eq_u32_e64 s[0:1], s10, v15
	s_nop 1
	v_cndmask_b32_e64 v8, v11, v8, s[0:1]
	v_lshrrev_b32_e32 v11, 16, v13
	v_and_or_b32 v8, v9, s11, v8
	v_bitop3_b32 v9, v14, s14, v12 bitop3:0xc8
	v_mul_f16_sdwa v12, v69, v11 dst_sel:DWORD dst_unused:UNUSED_PAD src0_sel:WORD_1 src1_sel:DWORD
	v_fma_f16 v12, v69, v13, v12
	v_cvt_f32_f16_e32 v12, v12
	v_lshl_or_b32 v8, v8, 16, v9
	global_store_dword v[4:5], v8, off
	v_mul_f16_sdwa v13, v69, v13 dst_sel:DWORD dst_unused:UNUSED_PAD src0_sel:WORD_1 src1_sel:DWORD
	v_cvt_f64_f32_e32 v[8:9], v12
	v_mul_f64 v[8:9], v[8:9], s[6:7]
	v_and_or_b32 v8, v9, s13, v8
	v_cmp_ne_u32_e64 s[0:1], 0, v8
	v_lshrrev_b32_e32 v12, 8, v9
	v_bfe_u32 v14, v9, 20, 11
	v_cndmask_b32_e64 v8, 0, 1, s[0:1]
	v_and_or_b32 v8, v12, s12, v8
	v_sub_u32_e32 v15, 0x3f1, v14
	v_or_b32_e32 v12, 0x1000, v8
	v_med3_i32 v15, v15, 0, 13
	v_lshrrev_b32_e32 v16, v15, v12
	v_lshlrev_b32_e32 v15, v15, v16
	v_cmp_ne_u32_e64 s[0:1], v15, v12
	v_add_u32_e32 v14, 0xfffffc10, v14
	v_lshl_or_b32 v15, v14, 12, v8
	v_cndmask_b32_e64 v12, 0, 1, s[0:1]
	v_or_b32_e32 v12, v16, v12
	v_cmp_gt_i32_e64 s[0:1], 1, v14
	v_fma_f16 v11, v69, v11, -v13
	v_cvt_f32_f16_e32 v11, v11
	v_cndmask_b32_e64 v12, v15, v12, s[0:1]
	v_and_b32_e32 v15, 7, v12
	v_cmp_lt_i32_e64 s[0:1], 5, v15
	v_cmp_eq_u32_e64 s[2:3], 3, v15
	v_lshrrev_b32_e32 v12, 2, v12
	s_or_b64 s[0:1], s[2:3], s[0:1]
	v_addc_co_u32_e64 v12, s[0:1], 0, v12, s[0:1]
	v_cmp_gt_i32_e64 s[0:1], 31, v14
	v_and_b32_sdwa v13, v9, s11 dst_sel:DWORD dst_unused:UNUSED_PAD src0_sel:WORD_1 src1_sel:DWORD
	v_lshl_add_u64 v[4:5], v[4:5], 0, s[8:9]
	v_cndmask_b32_e64 v12, v6, v12, s[0:1]
	v_cmp_ne_u32_e64 s[0:1], 0, v8
	s_nop 1
	v_cndmask_b32_e64 v8, 0, 1, s[0:1]
	v_lshl_or_b32 v8, v8, 9, v6
	v_cmp_eq_u32_e64 s[0:1], s10, v14
	s_nop 1
	v_cndmask_b32_e64 v12, v12, v8, s[0:1]
	v_cvt_f64_f32_e32 v[8:9], v11
	v_mul_f64 v[8:9], v[8:9], s[6:7]
	v_and_or_b32 v8, v9, s13, v8
	v_cmp_ne_u32_e64 s[0:1], 0, v8
	v_lshrrev_b32_e32 v11, 8, v9
	v_bfe_u32 v14, v9, 20, 11
	v_cndmask_b32_e64 v8, 0, 1, s[0:1]
	v_and_or_b32 v8, v11, s12, v8
	v_sub_u32_e32 v15, 0x3f1, v14
	v_or_b32_e32 v11, 0x1000, v8
	v_med3_i32 v15, v15, 0, 13
	v_lshrrev_b32_e32 v16, v15, v11
	v_lshlrev_b32_e32 v15, v15, v16
	v_cmp_ne_u32_e64 s[0:1], v15, v11
	v_add_u32_e32 v14, 0xfffffc10, v14
	v_lshl_or_b32 v15, v14, 12, v8
	v_cndmask_b32_e64 v11, 0, 1, s[0:1]
	v_or_b32_e32 v11, v16, v11
	v_cmp_gt_i32_e64 s[0:1], 1, v14
	v_lshrrev_b32_e32 v9, 16, v9
	s_nop 0
	v_cndmask_b32_e64 v11, v15, v11, s[0:1]
	v_and_b32_e32 v15, 7, v11
	v_cmp_lt_i32_e64 s[0:1], 5, v15
	v_cmp_eq_u32_e64 s[2:3], 3, v15
	v_lshrrev_b32_e32 v11, 2, v11
	s_or_b64 s[0:1], s[2:3], s[0:1]
	v_addc_co_u32_e64 v11, s[0:1], 0, v11, s[0:1]
	v_cmp_gt_i32_e64 s[0:1], 31, v14
	s_nop 1
	v_cndmask_b32_e64 v15, v6, v11, s[0:1]
	ds_read2_b32 v[10:11], v10 offset0:16 offset1:178
	v_cmp_ne_u32_e64 s[0:1], 0, v8
	s_nop 1
	v_cndmask_b32_e64 v8, 0, 1, s[0:1]
	v_lshl_or_b32 v8, v8, 9, v6
	v_cmp_eq_u32_e64 s[0:1], s10, v14
	s_nop 1
	v_cndmask_b32_e64 v8, v15, v8, s[0:1]
	v_and_or_b32 v8, v9, s11, v8
	v_bitop3_b32 v9, v13, s14, v12 bitop3:0xc8
	s_waitcnt lgkmcnt(0)
	v_lshrrev_b32_e32 v12, 16, v10
	v_mul_f16_sdwa v13, v68, v12 dst_sel:DWORD dst_unused:UNUSED_PAD src0_sel:WORD_1 src1_sel:DWORD
	v_fma_f16 v13, v68, v10, v13
	v_cvt_f32_f16_e32 v13, v13
	v_lshl_or_b32 v8, v8, 16, v9
	global_store_dword v[4:5], v8, off
	v_mul_f16_sdwa v10, v68, v10 dst_sel:DWORD dst_unused:UNUSED_PAD src0_sel:WORD_1 src1_sel:DWORD
	v_cvt_f64_f32_e32 v[8:9], v13
	v_mul_f64 v[8:9], v[8:9], s[6:7]
	v_and_or_b32 v8, v9, s13, v8
	v_cmp_ne_u32_e64 s[0:1], 0, v8
	v_lshrrev_b32_e32 v13, 8, v9
	v_bfe_u32 v14, v9, 20, 11
	v_cndmask_b32_e64 v8, 0, 1, s[0:1]
	v_and_or_b32 v8, v13, s12, v8
	v_sub_u32_e32 v15, 0x3f1, v14
	v_or_b32_e32 v13, 0x1000, v8
	v_med3_i32 v15, v15, 0, 13
	v_lshrrev_b32_e32 v16, v15, v13
	v_lshlrev_b32_e32 v15, v15, v16
	v_cmp_ne_u32_e64 s[0:1], v15, v13
	v_add_u32_e32 v14, 0xfffffc10, v14
	v_lshl_or_b32 v15, v14, 12, v8
	v_cndmask_b32_e64 v13, 0, 1, s[0:1]
	v_or_b32_e32 v13, v16, v13
	v_cmp_gt_i32_e64 s[0:1], 1, v14
	v_fma_f16 v10, v68, v12, -v10
	v_cvt_f32_f16_e32 v10, v10
	v_cndmask_b32_e64 v13, v15, v13, s[0:1]
	v_and_b32_e32 v15, 7, v13
	v_cmp_lt_i32_e64 s[0:1], 5, v15
	v_cmp_eq_u32_e64 s[2:3], 3, v15
	v_lshrrev_b32_e32 v13, 2, v13
	s_or_b64 s[0:1], s[2:3], s[0:1]
	v_addc_co_u32_e64 v13, s[0:1], 0, v13, s[0:1]
	v_cmp_gt_i32_e64 s[0:1], 31, v14
	v_lshl_add_u64 v[4:5], v[4:5], 0, s[8:9]
	s_nop 0
	v_cndmask_b32_e64 v13, v6, v13, s[0:1]
	v_cmp_ne_u32_e64 s[0:1], 0, v8
	s_nop 1
	v_cndmask_b32_e64 v8, 0, 1, s[0:1]
	v_lshl_or_b32 v8, v8, 9, v6
	v_cmp_eq_u32_e64 s[0:1], s10, v14
	s_nop 1
	v_cndmask_b32_e64 v12, v13, v8, s[0:1]
	v_and_b32_sdwa v13, v9, s11 dst_sel:DWORD dst_unused:UNUSED_PAD src0_sel:WORD_1 src1_sel:DWORD
	v_cvt_f64_f32_e32 v[8:9], v10
	v_mul_f64 v[8:9], v[8:9], s[6:7]
	v_and_or_b32 v8, v9, s13, v8
	v_cmp_ne_u32_e64 s[0:1], 0, v8
	v_lshrrev_b32_e32 v10, 8, v9
	v_bfe_u32 v14, v9, 20, 11
	v_cndmask_b32_e64 v8, 0, 1, s[0:1]
	v_and_or_b32 v8, v10, s12, v8
	v_sub_u32_e32 v15, 0x3f1, v14
	v_or_b32_e32 v10, 0x1000, v8
	v_med3_i32 v15, v15, 0, 13
	v_lshrrev_b32_e32 v16, v15, v10
	v_lshlrev_b32_e32 v15, v15, v16
	v_cmp_ne_u32_e64 s[0:1], v15, v10
	v_add_u32_e32 v14, 0xfffffc10, v14
	v_lshl_or_b32 v15, v14, 12, v8
	v_cndmask_b32_e64 v10, 0, 1, s[0:1]
	v_or_b32_e32 v10, v16, v10
	v_cmp_gt_i32_e64 s[0:1], 1, v14
	v_lshrrev_b32_e32 v9, 16, v9
	s_nop 0
	v_cndmask_b32_e64 v10, v15, v10, s[0:1]
	v_and_b32_e32 v15, 7, v10
	v_cmp_lt_i32_e64 s[0:1], 5, v15
	v_cmp_eq_u32_e64 s[2:3], 3, v15
	v_lshrrev_b32_e32 v10, 2, v10
	s_or_b64 s[0:1], s[2:3], s[0:1]
	v_addc_co_u32_e64 v10, s[0:1], 0, v10, s[0:1]
	v_cmp_gt_i32_e64 s[0:1], 31, v14
	s_nop 1
	v_cndmask_b32_e64 v10, v6, v10, s[0:1]
	v_cmp_ne_u32_e64 s[0:1], 0, v8
	s_nop 1
	v_cndmask_b32_e64 v8, 0, 1, s[0:1]
	v_lshl_or_b32 v8, v8, 9, v6
	v_cmp_eq_u32_e64 s[0:1], s10, v14
	s_nop 1
	v_cndmask_b32_e64 v8, v10, v8, s[0:1]
	v_lshrrev_b32_e32 v10, 16, v11
	v_and_or_b32 v8, v9, s11, v8
	v_bitop3_b32 v9, v13, s14, v12 bitop3:0xc8
	v_mul_f16_sdwa v12, v7, v10 dst_sel:DWORD dst_unused:UNUSED_PAD src0_sel:WORD_1 src1_sel:DWORD
	v_fma_f16 v12, v7, v11, v12
	v_cvt_f32_f16_e32 v12, v12
	v_lshl_or_b32 v8, v8, 16, v9
	global_store_dword v[4:5], v8, off
	v_mul_f16_sdwa v11, v7, v11 dst_sel:DWORD dst_unused:UNUSED_PAD src0_sel:WORD_1 src1_sel:DWORD
	v_cvt_f64_f32_e32 v[8:9], v12
	v_mul_f64 v[8:9], v[8:9], s[6:7]
	v_and_or_b32 v8, v9, s13, v8
	v_cmp_ne_u32_e64 s[0:1], 0, v8
	v_lshrrev_b32_e32 v12, 8, v9
	v_bfe_u32 v13, v9, 20, 11
	v_cndmask_b32_e64 v8, 0, 1, s[0:1]
	v_and_or_b32 v8, v12, s12, v8
	v_sub_u32_e32 v14, 0x3f1, v13
	v_or_b32_e32 v12, 0x1000, v8
	v_med3_i32 v14, v14, 0, 13
	v_lshrrev_b32_e32 v15, v14, v12
	v_lshlrev_b32_e32 v14, v14, v15
	v_cmp_ne_u32_e64 s[0:1], v14, v12
	v_add_u32_e32 v13, 0xfffffc10, v13
	v_lshl_or_b32 v14, v13, 12, v8
	v_cndmask_b32_e64 v12, 0, 1, s[0:1]
	v_or_b32_e32 v12, v15, v12
	v_cmp_gt_i32_e64 s[0:1], 1, v13
	v_fma_f16 v7, v7, v10, -v11
	v_cvt_f32_f16_e32 v7, v7
	v_cndmask_b32_e64 v12, v14, v12, s[0:1]
	v_and_b32_e32 v14, 7, v12
	v_cmp_lt_i32_e64 s[0:1], 5, v14
	v_cmp_eq_u32_e64 s[2:3], 3, v14
	v_lshrrev_b32_e32 v12, 2, v12
	s_or_b64 s[0:1], s[2:3], s[0:1]
	v_addc_co_u32_e64 v12, s[0:1], 0, v12, s[0:1]
	v_cmp_gt_i32_e64 s[0:1], 31, v13
	v_and_b32_sdwa v11, v9, s11 dst_sel:DWORD dst_unused:UNUSED_PAD src0_sel:WORD_1 src1_sel:DWORD
	v_lshl_add_u64 v[4:5], v[4:5], 0, s[8:9]
	v_cndmask_b32_e64 v12, v6, v12, s[0:1]
	v_cmp_ne_u32_e64 s[0:1], 0, v8
	s_nop 1
	v_cndmask_b32_e64 v8, 0, 1, s[0:1]
	v_lshl_or_b32 v8, v8, 9, v6
	v_cmp_eq_u32_e64 s[0:1], s10, v13
	s_nop 1
	v_cndmask_b32_e64 v10, v12, v8, s[0:1]
	v_cvt_f64_f32_e32 v[8:9], v7
	v_mul_f64 v[8:9], v[8:9], s[6:7]
	v_and_or_b32 v7, v9, s13, v8
	v_cmp_ne_u32_e64 s[0:1], 0, v7
	v_lshrrev_b32_e32 v8, 8, v9
	v_bfe_u32 v12, v9, 20, 11
	v_cndmask_b32_e64 v7, 0, 1, s[0:1]
	v_and_or_b32 v7, v8, s12, v7
	v_sub_u32_e32 v13, 0x3f1, v12
	v_or_b32_e32 v8, 0x1000, v7
	v_med3_i32 v13, v13, 0, 13
	v_lshrrev_b32_e32 v14, v13, v8
	v_lshlrev_b32_e32 v13, v13, v14
	v_cmp_ne_u32_e64 s[0:1], v13, v8
	v_add_u32_e32 v12, 0xfffffc10, v12
	v_lshl_or_b32 v13, v12, 12, v7
	v_cndmask_b32_e64 v8, 0, 1, s[0:1]
	v_or_b32_e32 v8, v14, v8
	v_cmp_gt_i32_e64 s[0:1], 1, v12
	s_nop 1
	v_cndmask_b32_e64 v8, v13, v8, s[0:1]
	v_and_b32_e32 v13, 7, v8
	v_cmp_lt_i32_e64 s[0:1], 5, v13
	v_cmp_eq_u32_e64 s[2:3], 3, v13
	v_lshrrev_b32_e32 v8, 2, v8
	s_or_b64 s[0:1], s[2:3], s[0:1]
	v_addc_co_u32_e64 v8, s[0:1], 0, v8, s[0:1]
	v_cmp_gt_i32_e64 s[0:1], 31, v12
	ds_read_b32 v13, v0 offset:6480
	s_nop 0
	v_cndmask_b32_e64 v8, v6, v8, s[0:1]
	v_cmp_ne_u32_e64 s[0:1], 0, v7
	s_nop 1
	v_cndmask_b32_e64 v7, 0, 1, s[0:1]
	v_lshl_or_b32 v7, v7, 9, v6
	v_cmp_eq_u32_e64 s[0:1], s10, v12
	s_nop 1
	v_cndmask_b32_e64 v7, v8, v7, s[0:1]
	v_lshrrev_b32_e32 v8, 16, v9
	v_and_or_b32 v7, v8, s11, v7
	v_bitop3_b32 v8, v11, s14, v10 bitop3:0xc8
	s_waitcnt lgkmcnt(0)
	v_lshrrev_b32_e32 v10, 16, v13
	v_mul_f16_sdwa v9, v1, v10 dst_sel:DWORD dst_unused:UNUSED_PAD src0_sel:WORD_1 src1_sel:DWORD
	v_fma_f16 v9, v1, v13, v9
	v_cvt_f32_f16_e32 v9, v9
	v_lshl_or_b32 v7, v7, 16, v8
	global_store_dword v[4:5], v7, off
	v_lshl_add_u64 v[4:5], v[4:5], 0, s[8:9]
	v_cvt_f64_f32_e32 v[8:9], v9
	v_mul_f64 v[8:9], v[8:9], s[6:7]
	v_and_or_b32 v7, v9, s13, v8
	v_cmp_ne_u32_e64 s[0:1], 0, v7
	v_lshrrev_b32_e32 v8, 8, v9
	v_bfe_u32 v11, v9, 20, 11
	v_cndmask_b32_e64 v7, 0, 1, s[0:1]
	v_and_or_b32 v7, v8, s12, v7
	v_sub_u32_e32 v12, 0x3f1, v11
	v_or_b32_e32 v8, 0x1000, v7
	v_med3_i32 v12, v12, 0, 13
	v_lshrrev_b32_e32 v14, v12, v8
	v_lshlrev_b32_e32 v12, v12, v14
	v_cmp_ne_u32_e64 s[0:1], v12, v8
	v_add_u32_e32 v11, 0xfffffc10, v11
	v_lshl_or_b32 v12, v11, 12, v7
	v_cndmask_b32_e64 v8, 0, 1, s[0:1]
	v_or_b32_e32 v8, v14, v8
	v_cmp_gt_i32_e64 s[0:1], 1, v11
	s_nop 1
	v_cndmask_b32_e64 v8, v12, v8, s[0:1]
	v_and_b32_e32 v12, 7, v8
	v_cmp_lt_i32_e64 s[0:1], 5, v12
	v_cmp_eq_u32_e64 s[2:3], 3, v12
	v_lshrrev_b32_e32 v8, 2, v8
	s_or_b64 s[0:1], s[2:3], s[0:1]
	v_mul_f16_sdwa v12, v1, v13 dst_sel:DWORD dst_unused:UNUSED_PAD src0_sel:WORD_1 src1_sel:DWORD
	v_addc_co_u32_e64 v8, s[0:1], 0, v8, s[0:1]
	v_fma_f16 v1, v1, v10, -v12
	v_cmp_gt_i32_e64 s[0:1], 31, v11
	v_cvt_f32_f16_e32 v1, v1
	v_and_b32_sdwa v10, v9, s11 dst_sel:DWORD dst_unused:UNUSED_PAD src0_sel:WORD_1 src1_sel:DWORD
	v_cndmask_b32_e64 v8, v6, v8, s[0:1]
	v_cmp_ne_u32_e64 s[0:1], 0, v7
	s_nop 1
	v_cndmask_b32_e64 v7, 0, 1, s[0:1]
	v_lshl_or_b32 v7, v7, 9, v6
	v_cmp_eq_u32_e64 s[0:1], s10, v11
	s_nop 1
	v_cndmask_b32_e64 v7, v8, v7, s[0:1]
	v_cvt_f64_f32_e32 v[8:9], v1
	v_mul_f64 v[8:9], v[8:9], s[6:7]
	v_and_or_b32 v1, v9, s13, v8
	v_cmp_ne_u32_e64 s[0:1], 0, v1
	v_lshrrev_b32_e32 v8, 8, v9
	v_bfe_u32 v11, v9, 20, 11
	v_cndmask_b32_e64 v1, 0, 1, s[0:1]
	v_and_or_b32 v1, v8, s12, v1
	v_sub_u32_e32 v12, 0x3f1, v11
	v_or_b32_e32 v8, 0x1000, v1
	v_med3_i32 v12, v12, 0, 13
	v_lshrrev_b32_e32 v13, v12, v8
	v_lshlrev_b32_e32 v12, v12, v13
	v_cmp_ne_u32_e64 s[0:1], v12, v8
	v_add_u32_e32 v11, 0xfffffc10, v11
	v_lshl_or_b32 v12, v11, 12, v1
	v_cndmask_b32_e64 v8, 0, 1, s[0:1]
	v_or_b32_e32 v8, v13, v8
	v_cmp_gt_i32_e64 s[0:1], 1, v11
	v_bitop3_b32 v7, v10, s14, v7 bitop3:0xc8
	s_nop 0
	v_cndmask_b32_e64 v8, v12, v8, s[0:1]
	v_and_b32_e32 v12, 7, v8
	v_cmp_lt_i32_e64 s[0:1], 5, v12
	v_cmp_eq_u32_e64 s[2:3], 3, v12
	v_lshrrev_b32_e32 v8, 2, v8
	s_or_b64 s[0:1], s[2:3], s[0:1]
	v_addc_co_u32_e64 v8, s[0:1], 0, v8, s[0:1]
	v_cmp_gt_i32_e64 s[0:1], 31, v11
	s_nop 1
	v_cndmask_b32_e64 v8, v6, v8, s[0:1]
	v_cmp_ne_u32_e64 s[0:1], 0, v1
	s_nop 1
	v_cndmask_b32_e64 v1, 0, 1, s[0:1]
	v_lshl_or_b32 v1, v1, 9, v6
	v_cmp_eq_u32_e64 s[0:1], s10, v11
	s_nop 1
	v_cndmask_b32_e64 v1, v8, v1, s[0:1]
	v_lshrrev_b32_e32 v8, 16, v9
	v_and_or_b32 v1, v8, s11, v1
	v_lshl_or_b32 v1, v1, 16, v7
	global_store_dword v[4:5], v1, off
	s_and_b64 exec, exec, vcc
	s_cbranch_execz .LBB0_15
; %bb.14:
	global_load_dword v1, v[2:3], off offset:396
	v_add_u32_e32 v7, 0x100, v0
	ds_read2_b32 v[8:9], v7 offset0:35 offset1:197
	v_mov_b32_e32 v7, 0xffffe83c
	v_mad_u64_u32 v[4:5], s[0:1], s4, v7, v[4:5]
	s_mul_i32 s2, s5, 0xffffe83c
	s_waitcnt lgkmcnt(0)
	v_lshrrev_b32_e32 v7, 16, v8
	s_sub_i32 s0, s2, s4
	v_add_u32_e32 v5, s0, v5
	s_waitcnt vmcnt(0)
	v_mul_f16_sdwa v10, v7, v1 dst_sel:DWORD dst_unused:UNUSED_PAD src0_sel:DWORD src1_sel:WORD_1
	v_mul_f16_sdwa v11, v8, v1 dst_sel:DWORD dst_unused:UNUSED_PAD src0_sel:DWORD src1_sel:WORD_1
	v_fma_f16 v8, v8, v1, v10
	v_fma_f16 v1, v1, v7, -v11
	v_cvt_f32_f16_e32 v7, v8
	v_cvt_f32_f16_e32 v1, v1
	v_cvt_f64_f32_e32 v[10:11], v7
	v_cvt_f64_f32_e32 v[12:13], v1
	v_mul_f64 v[10:11], v[10:11], s[6:7]
	v_mul_f64 v[12:13], v[12:13], s[6:7]
	v_and_or_b32 v1, v11, s13, v10
	v_lshrrev_b32_e32 v7, 8, v11
	v_bfe_u32 v8, v11, 20, 11
	v_and_b32_sdwa v10, v11, s11 dst_sel:DWORD dst_unused:UNUSED_PAD src0_sel:WORD_1 src1_sel:DWORD
	v_and_or_b32 v11, v13, s13, v12
	v_cmp_ne_u32_e32 vcc, 0, v1
	v_lshrrev_b32_e32 v12, 8, v13
	v_bfe_u32 v14, v13, 20, 11
	v_cndmask_b32_e64 v1, 0, 1, vcc
	v_cmp_ne_u32_e32 vcc, 0, v11
	v_sub_u32_e32 v15, 0x3f1, v8
	v_and_or_b32 v1, v7, s12, v1
	v_cndmask_b32_e64 v11, 0, 1, vcc
	v_sub_u32_e32 v16, 0x3f1, v14
	v_med3_i32 v7, v15, 0, 13
	v_and_or_b32 v11, v12, s12, v11
	v_or_b32_e32 v15, 0x1000, v1
	v_add_u32_e32 v8, 0xfffffc10, v8
	v_med3_i32 v12, v16, 0, 13
	v_cmp_ne_u32_e32 vcc, 0, v1
	v_or_b32_e32 v17, 0x1000, v11
	v_lshrrev_b32_e32 v19, v7, v15
	v_add_u32_e32 v14, 0xfffffc10, v14
	v_lshl_or_b32 v16, v8, 12, v1
	v_cndmask_b32_e64 v1, 0, 1, vcc
	v_cmp_ne_u32_e32 vcc, 0, v11
	v_lshrrev_b32_e32 v20, v12, v17
	v_lshlrev_b32_e32 v7, v7, v19
	v_lshl_or_b32 v18, v14, 12, v11
	v_cndmask_b32_e64 v11, 0, 1, vcc
	v_lshlrev_b32_e32 v12, v12, v20
	v_cmp_ne_u32_e32 vcc, v7, v15
	v_lshl_or_b32 v1, v1, 9, v6
	v_lshl_or_b32 v11, v11, 9, v6
	v_cndmask_b32_e64 v7, 0, 1, vcc
	v_cmp_ne_u32_e32 vcc, v12, v17
	v_or_b32_e32 v7, v19, v7
	v_lshrrev_b32_e32 v13, 16, v13
	v_cndmask_b32_e64 v12, 0, 1, vcc
	v_cmp_gt_i32_e32 vcc, 1, v8
	v_or_b32_e32 v12, v20, v12
	s_nop 0
	v_cndmask_b32_e32 v7, v16, v7, vcc
	v_cmp_gt_i32_e32 vcc, 1, v14
	v_and_b32_e32 v15, 7, v7
	v_cmp_eq_u32_e64 s[0:1], 3, v15
	v_cndmask_b32_e32 v12, v18, v12, vcc
	v_cmp_lt_i32_e32 vcc, 5, v15
	v_lshrrev_b32_e32 v7, 2, v7
	v_and_b32_e32 v16, 7, v12
	s_or_b64 vcc, s[0:1], vcc
	v_cmp_lt_i32_e64 s[2:3], 5, v16
	v_cmp_eq_u32_e64 s[4:5], 3, v16
	v_addc_co_u32_e32 v7, vcc, 0, v7, vcc
	v_lshrrev_b32_e32 v12, 2, v12
	s_or_b64 vcc, s[4:5], s[2:3]
	v_addc_co_u32_e32 v12, vcc, 0, v12, vcc
	v_cmp_gt_i32_e32 vcc, 31, v8
	s_nop 1
	v_cndmask_b32_e32 v7, v6, v7, vcc
	v_cmp_gt_i32_e32 vcc, 31, v14
	s_nop 1
	v_cndmask_b32_e32 v12, v6, v12, vcc
	v_cmp_eq_u32_e32 vcc, s10, v8
	s_nop 1
	v_cndmask_b32_e32 v1, v7, v1, vcc
	v_cmp_eq_u32_e32 vcc, s10, v14
	v_bitop3_b32 v1, v10, s14, v1 bitop3:0xc8
	s_nop 0
	v_cndmask_b32_e32 v7, v12, v11, vcc
	v_and_or_b32 v7, v13, s11, v7
	v_lshl_or_b32 v1, v7, 16, v1
	global_store_dword v[4:5], v1, off
	global_load_dword v1, v[2:3], off offset:1044
	v_lshrrev_b32_e32 v7, 16, v9
	v_lshl_add_u64 v[4:5], v[4:5], 0, s[8:9]
	s_waitcnt vmcnt(0)
	v_mul_f16_sdwa v8, v7, v1 dst_sel:DWORD dst_unused:UNUSED_PAD src0_sel:DWORD src1_sel:WORD_1
	v_mul_f16_sdwa v10, v9, v1 dst_sel:DWORD dst_unused:UNUSED_PAD src0_sel:DWORD src1_sel:WORD_1
	v_fma_f16 v8, v9, v1, v8
	v_fma_f16 v1, v1, v7, -v10
	v_cvt_f32_f16_e32 v7, v8
	v_cvt_f32_f16_e32 v1, v1
	v_cvt_f64_f32_e32 v[8:9], v7
	v_cvt_f64_f32_e32 v[10:11], v1
	v_mul_f64 v[8:9], v[8:9], s[6:7]
	v_mul_f64 v[10:11], v[10:11], s[6:7]
	v_and_or_b32 v1, v9, s13, v8
	v_and_or_b32 v10, v11, s13, v10
	v_cmp_ne_u32_e32 vcc, 0, v1
	v_lshrrev_b32_e32 v7, 8, v9
	v_bfe_u32 v8, v9, 20, 11
	v_cndmask_b32_e64 v1, 0, 1, vcc
	v_cmp_ne_u32_e32 vcc, 0, v10
	v_lshrrev_b32_e32 v12, 8, v11
	v_bfe_u32 v13, v11, 20, 11
	v_sub_u32_e32 v14, 0x3f1, v8
	v_cndmask_b32_e64 v10, 0, 1, vcc
	v_and_or_b32 v1, v7, s12, v1
	v_sub_u32_e32 v15, 0x3f1, v13
	v_med3_i32 v7, v14, 0, 13
	v_and_or_b32 v10, v12, s12, v10
	v_or_b32_e32 v14, 0x1000, v1
	v_add_u32_e32 v8, 0xfffffc10, v8
	v_med3_i32 v12, v15, 0, 13
	v_cmp_ne_u32_e32 vcc, 0, v1
	v_or_b32_e32 v16, 0x1000, v10
	v_lshrrev_b32_e32 v18, v7, v14
	v_add_u32_e32 v13, 0xfffffc10, v13
	v_lshl_or_b32 v15, v8, 12, v1
	v_cndmask_b32_e64 v1, 0, 1, vcc
	v_cmp_ne_u32_e32 vcc, 0, v10
	v_lshrrev_b32_e32 v19, v12, v16
	v_lshlrev_b32_e32 v7, v7, v18
	v_lshl_or_b32 v17, v13, 12, v10
	v_cndmask_b32_e64 v10, 0, 1, vcc
	v_lshlrev_b32_e32 v12, v12, v19
	v_cmp_ne_u32_e32 vcc, v7, v14
	v_lshl_or_b32 v1, v1, 9, v6
	v_lshl_or_b32 v10, v10, 9, v6
	v_cndmask_b32_e64 v7, 0, 1, vcc
	v_cmp_ne_u32_e32 vcc, v12, v16
	v_or_b32_e32 v7, v18, v7
	v_and_b32_sdwa v9, v9, s11 dst_sel:DWORD dst_unused:UNUSED_PAD src0_sel:WORD_1 src1_sel:DWORD
	v_cndmask_b32_e64 v12, 0, 1, vcc
	v_cmp_gt_i32_e32 vcc, 1, v8
	v_or_b32_e32 v12, v19, v12
	v_lshrrev_b32_e32 v11, 16, v11
	v_cndmask_b32_e32 v7, v15, v7, vcc
	v_cmp_gt_i32_e32 vcc, 1, v13
	v_and_b32_e32 v14, 7, v7
	v_cmp_eq_u32_e64 s[0:1], 3, v14
	v_cndmask_b32_e32 v12, v17, v12, vcc
	v_cmp_lt_i32_e32 vcc, 5, v14
	v_lshrrev_b32_e32 v7, 2, v7
	v_and_b32_e32 v15, 7, v12
	s_or_b64 vcc, s[0:1], vcc
	v_cmp_lt_i32_e64 s[2:3], 5, v15
	v_cmp_eq_u32_e64 s[4:5], 3, v15
	v_addc_co_u32_e32 v7, vcc, 0, v7, vcc
	v_lshrrev_b32_e32 v12, 2, v12
	s_or_b64 vcc, s[4:5], s[2:3]
	v_addc_co_u32_e32 v12, vcc, 0, v12, vcc
	v_cmp_gt_i32_e32 vcc, 31, v8
	s_nop 1
	v_cndmask_b32_e32 v7, v6, v7, vcc
	v_cmp_gt_i32_e32 vcc, 31, v13
	s_nop 1
	v_cndmask_b32_e32 v12, v6, v12, vcc
	v_cmp_eq_u32_e32 vcc, s10, v8
	s_nop 1
	v_cndmask_b32_e32 v1, v7, v1, vcc
	v_cmp_eq_u32_e32 vcc, s10, v13
	v_bitop3_b32 v1, v9, s14, v1 bitop3:0xc8
	s_nop 0
	v_cndmask_b32_e32 v7, v12, v10, vcc
	v_and_or_b32 v7, v11, s11, v7
	v_lshl_or_b32 v1, v7, 16, v1
	global_store_dword v[4:5], v1, off
	global_load_dword v1, v[2:3], off offset:1692
	v_add_u32_e32 v7, 0x600, v0
	ds_read2_b32 v[8:9], v7 offset0:39 offset1:201
	v_lshl_add_u64 v[4:5], v[4:5], 0, s[8:9]
	s_waitcnt lgkmcnt(0)
	v_lshrrev_b32_e32 v7, 16, v8
	s_waitcnt vmcnt(0)
	v_mul_f16_sdwa v10, v7, v1 dst_sel:DWORD dst_unused:UNUSED_PAD src0_sel:DWORD src1_sel:WORD_1
	v_mul_f16_sdwa v11, v8, v1 dst_sel:DWORD dst_unused:UNUSED_PAD src0_sel:DWORD src1_sel:WORD_1
	v_fma_f16 v8, v8, v1, v10
	v_fma_f16 v1, v1, v7, -v11
	v_cvt_f32_f16_e32 v7, v8
	v_cvt_f32_f16_e32 v1, v1
	v_cvt_f64_f32_e32 v[10:11], v7
	v_cvt_f64_f32_e32 v[12:13], v1
	v_mul_f64 v[10:11], v[10:11], s[6:7]
	v_mul_f64 v[12:13], v[12:13], s[6:7]
	v_and_or_b32 v1, v11, s13, v10
	v_lshrrev_b32_e32 v7, 8, v11
	v_bfe_u32 v8, v11, 20, 11
	v_and_b32_sdwa v10, v11, s11 dst_sel:DWORD dst_unused:UNUSED_PAD src0_sel:WORD_1 src1_sel:DWORD
	v_and_or_b32 v11, v13, s13, v12
	v_cmp_ne_u32_e32 vcc, 0, v1
	v_lshrrev_b32_e32 v12, 8, v13
	v_bfe_u32 v14, v13, 20, 11
	v_cndmask_b32_e64 v1, 0, 1, vcc
	v_cmp_ne_u32_e32 vcc, 0, v11
	v_sub_u32_e32 v15, 0x3f1, v8
	v_and_or_b32 v1, v7, s12, v1
	v_cndmask_b32_e64 v11, 0, 1, vcc
	v_sub_u32_e32 v16, 0x3f1, v14
	v_med3_i32 v7, v15, 0, 13
	v_and_or_b32 v11, v12, s12, v11
	v_or_b32_e32 v15, 0x1000, v1
	v_add_u32_e32 v8, 0xfffffc10, v8
	v_med3_i32 v12, v16, 0, 13
	v_cmp_ne_u32_e32 vcc, 0, v1
	v_or_b32_e32 v17, 0x1000, v11
	v_lshrrev_b32_e32 v19, v7, v15
	v_add_u32_e32 v14, 0xfffffc10, v14
	v_lshl_or_b32 v16, v8, 12, v1
	v_cndmask_b32_e64 v1, 0, 1, vcc
	v_cmp_ne_u32_e32 vcc, 0, v11
	v_lshrrev_b32_e32 v20, v12, v17
	v_lshlrev_b32_e32 v7, v7, v19
	v_lshl_or_b32 v18, v14, 12, v11
	v_cndmask_b32_e64 v11, 0, 1, vcc
	v_lshlrev_b32_e32 v12, v12, v20
	v_cmp_ne_u32_e32 vcc, v7, v15
	v_lshl_or_b32 v1, v1, 9, v6
	v_lshl_or_b32 v11, v11, 9, v6
	v_cndmask_b32_e64 v7, 0, 1, vcc
	v_cmp_ne_u32_e32 vcc, v12, v17
	v_or_b32_e32 v7, v19, v7
	v_lshrrev_b32_e32 v13, 16, v13
	v_cndmask_b32_e64 v12, 0, 1, vcc
	v_cmp_gt_i32_e32 vcc, 1, v8
	v_or_b32_e32 v12, v20, v12
	s_nop 0
	v_cndmask_b32_e32 v7, v16, v7, vcc
	v_cmp_gt_i32_e32 vcc, 1, v14
	v_and_b32_e32 v15, 7, v7
	v_cmp_eq_u32_e64 s[0:1], 3, v15
	v_cndmask_b32_e32 v12, v18, v12, vcc
	v_cmp_lt_i32_e32 vcc, 5, v15
	v_lshrrev_b32_e32 v7, 2, v7
	v_and_b32_e32 v16, 7, v12
	s_or_b64 vcc, s[0:1], vcc
	v_cmp_lt_i32_e64 s[2:3], 5, v16
	v_cmp_eq_u32_e64 s[4:5], 3, v16
	v_addc_co_u32_e32 v7, vcc, 0, v7, vcc
	v_lshrrev_b32_e32 v12, 2, v12
	s_or_b64 vcc, s[4:5], s[2:3]
	v_addc_co_u32_e32 v12, vcc, 0, v12, vcc
	v_cmp_gt_i32_e32 vcc, 31, v8
	s_nop 1
	v_cndmask_b32_e32 v7, v6, v7, vcc
	v_cmp_gt_i32_e32 vcc, 31, v14
	s_nop 1
	v_cndmask_b32_e32 v12, v6, v12, vcc
	v_cmp_eq_u32_e32 vcc, s10, v8
	s_nop 1
	v_cndmask_b32_e32 v1, v7, v1, vcc
	v_cmp_eq_u32_e32 vcc, s10, v14
	v_bitop3_b32 v1, v10, s14, v1 bitop3:0xc8
	s_nop 0
	v_cndmask_b32_e32 v7, v12, v11, vcc
	v_and_or_b32 v7, v13, s11, v7
	v_lshl_or_b32 v1, v7, 16, v1
	global_store_dword v[4:5], v1, off
	global_load_dword v1, v[2:3], off offset:2340
	v_lshrrev_b32_e32 v7, 16, v9
	v_lshl_add_u64 v[4:5], v[4:5], 0, s[8:9]
	s_waitcnt vmcnt(0)
	v_mul_f16_sdwa v8, v7, v1 dst_sel:DWORD dst_unused:UNUSED_PAD src0_sel:DWORD src1_sel:WORD_1
	v_mul_f16_sdwa v10, v9, v1 dst_sel:DWORD dst_unused:UNUSED_PAD src0_sel:DWORD src1_sel:WORD_1
	v_fma_f16 v8, v9, v1, v8
	v_fma_f16 v1, v1, v7, -v10
	v_cvt_f32_f16_e32 v7, v8
	v_cvt_f32_f16_e32 v1, v1
	v_cvt_f64_f32_e32 v[8:9], v7
	v_cvt_f64_f32_e32 v[10:11], v1
	v_mul_f64 v[8:9], v[8:9], s[6:7]
	v_mul_f64 v[10:11], v[10:11], s[6:7]
	v_and_or_b32 v1, v9, s13, v8
	v_and_or_b32 v10, v11, s13, v10
	v_cmp_ne_u32_e32 vcc, 0, v1
	v_lshrrev_b32_e32 v7, 8, v9
	v_bfe_u32 v8, v9, 20, 11
	v_cndmask_b32_e64 v1, 0, 1, vcc
	v_cmp_ne_u32_e32 vcc, 0, v10
	v_lshrrev_b32_e32 v12, 8, v11
	v_bfe_u32 v13, v11, 20, 11
	v_sub_u32_e32 v14, 0x3f1, v8
	v_cndmask_b32_e64 v10, 0, 1, vcc
	v_and_or_b32 v1, v7, s12, v1
	v_sub_u32_e32 v15, 0x3f1, v13
	v_med3_i32 v7, v14, 0, 13
	v_and_or_b32 v10, v12, s12, v10
	v_or_b32_e32 v14, 0x1000, v1
	v_add_u32_e32 v8, 0xfffffc10, v8
	v_med3_i32 v12, v15, 0, 13
	v_cmp_ne_u32_e32 vcc, 0, v1
	v_or_b32_e32 v16, 0x1000, v10
	v_lshrrev_b32_e32 v18, v7, v14
	v_add_u32_e32 v13, 0xfffffc10, v13
	v_lshl_or_b32 v15, v8, 12, v1
	v_cndmask_b32_e64 v1, 0, 1, vcc
	v_cmp_ne_u32_e32 vcc, 0, v10
	v_lshrrev_b32_e32 v19, v12, v16
	v_lshlrev_b32_e32 v7, v7, v18
	v_lshl_or_b32 v17, v13, 12, v10
	v_cndmask_b32_e64 v10, 0, 1, vcc
	v_lshlrev_b32_e32 v12, v12, v19
	v_cmp_ne_u32_e32 vcc, v7, v14
	v_lshl_or_b32 v1, v1, 9, v6
	v_lshl_or_b32 v10, v10, 9, v6
	v_cndmask_b32_e64 v7, 0, 1, vcc
	v_cmp_ne_u32_e32 vcc, v12, v16
	v_or_b32_e32 v7, v18, v7
	v_and_b32_sdwa v9, v9, s11 dst_sel:DWORD dst_unused:UNUSED_PAD src0_sel:WORD_1 src1_sel:DWORD
	v_cndmask_b32_e64 v12, 0, 1, vcc
	v_cmp_gt_i32_e32 vcc, 1, v8
	v_or_b32_e32 v12, v19, v12
	v_lshrrev_b32_e32 v11, 16, v11
	v_cndmask_b32_e32 v7, v15, v7, vcc
	v_cmp_gt_i32_e32 vcc, 1, v13
	v_and_b32_e32 v14, 7, v7
	v_cmp_eq_u32_e64 s[0:1], 3, v14
	v_cndmask_b32_e32 v12, v17, v12, vcc
	v_cmp_lt_i32_e32 vcc, 5, v14
	v_lshrrev_b32_e32 v7, 2, v7
	v_and_b32_e32 v15, 7, v12
	s_or_b64 vcc, s[0:1], vcc
	v_cmp_lt_i32_e64 s[2:3], 5, v15
	v_cmp_eq_u32_e64 s[4:5], 3, v15
	v_addc_co_u32_e32 v7, vcc, 0, v7, vcc
	v_lshrrev_b32_e32 v12, 2, v12
	s_or_b64 vcc, s[4:5], s[2:3]
	v_addc_co_u32_e32 v12, vcc, 0, v12, vcc
	v_cmp_gt_i32_e32 vcc, 31, v8
	s_nop 1
	v_cndmask_b32_e32 v7, v6, v7, vcc
	v_cmp_gt_i32_e32 vcc, 31, v13
	s_nop 1
	v_cndmask_b32_e32 v12, v6, v12, vcc
	v_cmp_eq_u32_e32 vcc, s10, v8
	s_nop 1
	v_cndmask_b32_e32 v1, v7, v1, vcc
	v_cmp_eq_u32_e32 vcc, s10, v13
	v_bitop3_b32 v1, v9, s14, v1 bitop3:0xc8
	s_nop 0
	v_cndmask_b32_e32 v7, v12, v10, vcc
	v_and_or_b32 v7, v11, s11, v7
	v_lshl_or_b32 v1, v7, 16, v1
	global_store_dword v[4:5], v1, off
	global_load_dword v1, v[2:3], off offset:2988
	v_add_u32_e32 v7, 0xb00, v0
	ds_read2_b32 v[8:9], v7 offset0:43 offset1:205
	v_lshl_add_u64 v[4:5], v[4:5], 0, s[8:9]
	s_waitcnt lgkmcnt(0)
	v_lshrrev_b32_e32 v7, 16, v8
	s_waitcnt vmcnt(0)
	v_mul_f16_sdwa v10, v7, v1 dst_sel:DWORD dst_unused:UNUSED_PAD src0_sel:DWORD src1_sel:WORD_1
	v_mul_f16_sdwa v11, v8, v1 dst_sel:DWORD dst_unused:UNUSED_PAD src0_sel:DWORD src1_sel:WORD_1
	v_fma_f16 v8, v8, v1, v10
	v_fma_f16 v1, v1, v7, -v11
	v_cvt_f32_f16_e32 v7, v8
	v_cvt_f32_f16_e32 v1, v1
	v_cvt_f64_f32_e32 v[10:11], v7
	v_cvt_f64_f32_e32 v[12:13], v1
	v_mul_f64 v[10:11], v[10:11], s[6:7]
	v_mul_f64 v[12:13], v[12:13], s[6:7]
	v_and_or_b32 v1, v11, s13, v10
	v_lshrrev_b32_e32 v7, 8, v11
	v_bfe_u32 v8, v11, 20, 11
	v_and_b32_sdwa v10, v11, s11 dst_sel:DWORD dst_unused:UNUSED_PAD src0_sel:WORD_1 src1_sel:DWORD
	v_and_or_b32 v11, v13, s13, v12
	v_cmp_ne_u32_e32 vcc, 0, v1
	v_lshrrev_b32_e32 v12, 8, v13
	v_bfe_u32 v14, v13, 20, 11
	v_cndmask_b32_e64 v1, 0, 1, vcc
	v_cmp_ne_u32_e32 vcc, 0, v11
	v_sub_u32_e32 v15, 0x3f1, v8
	v_and_or_b32 v1, v7, s12, v1
	v_cndmask_b32_e64 v11, 0, 1, vcc
	v_sub_u32_e32 v16, 0x3f1, v14
	v_med3_i32 v7, v15, 0, 13
	v_and_or_b32 v11, v12, s12, v11
	v_or_b32_e32 v15, 0x1000, v1
	v_add_u32_e32 v8, 0xfffffc10, v8
	v_med3_i32 v12, v16, 0, 13
	v_cmp_ne_u32_e32 vcc, 0, v1
	v_or_b32_e32 v17, 0x1000, v11
	v_lshrrev_b32_e32 v19, v7, v15
	v_add_u32_e32 v14, 0xfffffc10, v14
	v_lshl_or_b32 v16, v8, 12, v1
	v_cndmask_b32_e64 v1, 0, 1, vcc
	v_cmp_ne_u32_e32 vcc, 0, v11
	v_lshrrev_b32_e32 v20, v12, v17
	v_lshlrev_b32_e32 v7, v7, v19
	v_lshl_or_b32 v18, v14, 12, v11
	v_cndmask_b32_e64 v11, 0, 1, vcc
	v_lshlrev_b32_e32 v12, v12, v20
	v_cmp_ne_u32_e32 vcc, v7, v15
	v_lshl_or_b32 v1, v1, 9, v6
	v_lshl_or_b32 v11, v11, 9, v6
	v_cndmask_b32_e64 v7, 0, 1, vcc
	v_cmp_ne_u32_e32 vcc, v12, v17
	v_or_b32_e32 v7, v19, v7
	v_lshrrev_b32_e32 v13, 16, v13
	v_cndmask_b32_e64 v12, 0, 1, vcc
	v_cmp_gt_i32_e32 vcc, 1, v8
	v_or_b32_e32 v12, v20, v12
	s_nop 0
	v_cndmask_b32_e32 v7, v16, v7, vcc
	v_cmp_gt_i32_e32 vcc, 1, v14
	v_and_b32_e32 v15, 7, v7
	v_cmp_eq_u32_e64 s[0:1], 3, v15
	v_cndmask_b32_e32 v12, v18, v12, vcc
	v_cmp_lt_i32_e32 vcc, 5, v15
	v_lshrrev_b32_e32 v7, 2, v7
	v_and_b32_e32 v16, 7, v12
	s_or_b64 vcc, s[0:1], vcc
	v_cmp_lt_i32_e64 s[2:3], 5, v16
	v_cmp_eq_u32_e64 s[4:5], 3, v16
	v_addc_co_u32_e32 v7, vcc, 0, v7, vcc
	v_lshrrev_b32_e32 v12, 2, v12
	s_or_b64 vcc, s[4:5], s[2:3]
	v_addc_co_u32_e32 v12, vcc, 0, v12, vcc
	v_cmp_gt_i32_e32 vcc, 31, v8
	s_nop 1
	v_cndmask_b32_e32 v7, v6, v7, vcc
	v_cmp_gt_i32_e32 vcc, 31, v14
	s_nop 1
	v_cndmask_b32_e32 v12, v6, v12, vcc
	v_cmp_eq_u32_e32 vcc, s10, v8
	s_nop 1
	v_cndmask_b32_e32 v1, v7, v1, vcc
	v_cmp_eq_u32_e32 vcc, s10, v14
	v_bitop3_b32 v1, v10, s14, v1 bitop3:0xc8
	s_nop 0
	v_cndmask_b32_e32 v7, v12, v11, vcc
	v_and_or_b32 v7, v13, s11, v7
	v_lshl_or_b32 v1, v7, 16, v1
	global_store_dword v[4:5], v1, off
	global_load_dword v1, v[2:3], off offset:3636
	v_lshrrev_b32_e32 v7, 16, v9
	v_add_co_u32_e32 v2, vcc, s15, v2
	v_lshl_add_u64 v[4:5], v[4:5], 0, s[8:9]
	s_nop 0
	v_addc_co_u32_e32 v3, vcc, 0, v3, vcc
	s_waitcnt vmcnt(0)
	v_mul_f16_sdwa v8, v7, v1 dst_sel:DWORD dst_unused:UNUSED_PAD src0_sel:DWORD src1_sel:WORD_1
	v_mul_f16_sdwa v10, v9, v1 dst_sel:DWORD dst_unused:UNUSED_PAD src0_sel:DWORD src1_sel:WORD_1
	v_fma_f16 v8, v9, v1, v8
	v_fma_f16 v1, v1, v7, -v10
	v_cvt_f32_f16_e32 v7, v8
	v_cvt_f32_f16_e32 v1, v1
	v_cvt_f64_f32_e32 v[8:9], v7
	v_cvt_f64_f32_e32 v[10:11], v1
	v_mul_f64 v[8:9], v[8:9], s[6:7]
	v_mul_f64 v[10:11], v[10:11], s[6:7]
	v_and_or_b32 v1, v9, s13, v8
	v_and_or_b32 v10, v11, s13, v10
	v_cmp_ne_u32_e32 vcc, 0, v1
	v_lshrrev_b32_e32 v7, 8, v9
	v_bfe_u32 v8, v9, 20, 11
	v_cndmask_b32_e64 v1, 0, 1, vcc
	v_cmp_ne_u32_e32 vcc, 0, v10
	v_lshrrev_b32_e32 v12, 8, v11
	v_bfe_u32 v13, v11, 20, 11
	v_sub_u32_e32 v14, 0x3f1, v8
	v_cndmask_b32_e64 v10, 0, 1, vcc
	v_and_or_b32 v1, v7, s12, v1
	v_sub_u32_e32 v15, 0x3f1, v13
	v_med3_i32 v7, v14, 0, 13
	v_and_or_b32 v10, v12, s12, v10
	v_or_b32_e32 v14, 0x1000, v1
	v_add_u32_e32 v8, 0xfffffc10, v8
	v_med3_i32 v12, v15, 0, 13
	v_cmp_ne_u32_e32 vcc, 0, v1
	v_or_b32_e32 v16, 0x1000, v10
	v_lshrrev_b32_e32 v18, v7, v14
	v_add_u32_e32 v13, 0xfffffc10, v13
	v_lshl_or_b32 v15, v8, 12, v1
	v_cndmask_b32_e64 v1, 0, 1, vcc
	v_cmp_ne_u32_e32 vcc, 0, v10
	v_lshrrev_b32_e32 v19, v12, v16
	v_lshlrev_b32_e32 v7, v7, v18
	v_lshl_or_b32 v17, v13, 12, v10
	v_cndmask_b32_e64 v10, 0, 1, vcc
	v_lshlrev_b32_e32 v12, v12, v19
	v_cmp_ne_u32_e32 vcc, v7, v14
	v_lshl_or_b32 v1, v1, 9, v6
	v_lshl_or_b32 v10, v10, 9, v6
	v_cndmask_b32_e64 v7, 0, 1, vcc
	v_cmp_ne_u32_e32 vcc, v12, v16
	v_or_b32_e32 v7, v18, v7
	v_and_b32_sdwa v9, v9, s11 dst_sel:DWORD dst_unused:UNUSED_PAD src0_sel:WORD_1 src1_sel:DWORD
	v_cndmask_b32_e64 v12, 0, 1, vcc
	v_cmp_gt_i32_e32 vcc, 1, v8
	v_or_b32_e32 v12, v19, v12
	v_lshrrev_b32_e32 v11, 16, v11
	v_cndmask_b32_e32 v7, v15, v7, vcc
	v_cmp_gt_i32_e32 vcc, 1, v13
	v_and_b32_e32 v14, 7, v7
	v_cmp_eq_u32_e64 s[0:1], 3, v14
	v_cndmask_b32_e32 v12, v17, v12, vcc
	v_cmp_lt_i32_e32 vcc, 5, v14
	v_lshrrev_b32_e32 v7, 2, v7
	v_and_b32_e32 v15, 7, v12
	s_or_b64 vcc, s[0:1], vcc
	v_cmp_lt_i32_e64 s[2:3], 5, v15
	v_cmp_eq_u32_e64 s[4:5], 3, v15
	v_addc_co_u32_e32 v7, vcc, 0, v7, vcc
	v_lshrrev_b32_e32 v12, 2, v12
	s_or_b64 vcc, s[4:5], s[2:3]
	v_addc_co_u32_e32 v12, vcc, 0, v12, vcc
	v_cmp_gt_i32_e32 vcc, 31, v8
	s_nop 1
	v_cndmask_b32_e32 v7, v6, v7, vcc
	v_cmp_gt_i32_e32 vcc, 31, v13
	s_nop 1
	v_cndmask_b32_e32 v12, v6, v12, vcc
	v_cmp_eq_u32_e32 vcc, s10, v8
	s_nop 1
	v_cndmask_b32_e32 v1, v7, v1, vcc
	v_cmp_eq_u32_e32 vcc, s10, v13
	v_bitop3_b32 v1, v9, s14, v1 bitop3:0xc8
	s_nop 0
	v_cndmask_b32_e32 v7, v12, v10, vcc
	v_and_or_b32 v7, v11, s11, v7
	v_lshl_or_b32 v1, v7, 16, v1
	global_store_dword v[4:5], v1, off
	global_load_dword v1, v[2:3], off offset:188
	v_add_u32_e32 v7, 0x1000, v0
	ds_read2_b32 v[8:9], v7 offset0:47 offset1:209
	v_lshl_add_u64 v[4:5], v[4:5], 0, s[8:9]
	s_waitcnt lgkmcnt(0)
	v_lshrrev_b32_e32 v7, 16, v8
	s_waitcnt vmcnt(0)
	v_mul_f16_sdwa v10, v7, v1 dst_sel:DWORD dst_unused:UNUSED_PAD src0_sel:DWORD src1_sel:WORD_1
	v_mul_f16_sdwa v11, v8, v1 dst_sel:DWORD dst_unused:UNUSED_PAD src0_sel:DWORD src1_sel:WORD_1
	v_fma_f16 v8, v8, v1, v10
	v_fma_f16 v1, v1, v7, -v11
	v_cvt_f32_f16_e32 v7, v8
	v_cvt_f32_f16_e32 v1, v1
	v_cvt_f64_f32_e32 v[10:11], v7
	v_cvt_f64_f32_e32 v[12:13], v1
	v_mul_f64 v[10:11], v[10:11], s[6:7]
	v_mul_f64 v[12:13], v[12:13], s[6:7]
	v_and_or_b32 v1, v11, s13, v10
	v_lshrrev_b32_e32 v7, 8, v11
	v_bfe_u32 v8, v11, 20, 11
	v_and_b32_sdwa v10, v11, s11 dst_sel:DWORD dst_unused:UNUSED_PAD src0_sel:WORD_1 src1_sel:DWORD
	v_and_or_b32 v11, v13, s13, v12
	v_cmp_ne_u32_e32 vcc, 0, v1
	v_lshrrev_b32_e32 v12, 8, v13
	v_bfe_u32 v14, v13, 20, 11
	v_cndmask_b32_e64 v1, 0, 1, vcc
	v_cmp_ne_u32_e32 vcc, 0, v11
	v_sub_u32_e32 v15, 0x3f1, v8
	v_and_or_b32 v1, v7, s12, v1
	v_cndmask_b32_e64 v11, 0, 1, vcc
	v_sub_u32_e32 v16, 0x3f1, v14
	v_med3_i32 v7, v15, 0, 13
	v_and_or_b32 v11, v12, s12, v11
	v_or_b32_e32 v15, 0x1000, v1
	v_add_u32_e32 v8, 0xfffffc10, v8
	v_med3_i32 v12, v16, 0, 13
	v_cmp_ne_u32_e32 vcc, 0, v1
	v_or_b32_e32 v17, 0x1000, v11
	v_lshrrev_b32_e32 v19, v7, v15
	v_add_u32_e32 v14, 0xfffffc10, v14
	v_lshl_or_b32 v16, v8, 12, v1
	v_cndmask_b32_e64 v1, 0, 1, vcc
	v_cmp_ne_u32_e32 vcc, 0, v11
	v_lshrrev_b32_e32 v20, v12, v17
	v_lshlrev_b32_e32 v7, v7, v19
	v_lshl_or_b32 v18, v14, 12, v11
	v_cndmask_b32_e64 v11, 0, 1, vcc
	v_lshlrev_b32_e32 v12, v12, v20
	v_cmp_ne_u32_e32 vcc, v7, v15
	v_lshl_or_b32 v1, v1, 9, v6
	v_lshl_or_b32 v11, v11, 9, v6
	v_cndmask_b32_e64 v7, 0, 1, vcc
	v_cmp_ne_u32_e32 vcc, v12, v17
	v_or_b32_e32 v7, v19, v7
	v_lshrrev_b32_e32 v13, 16, v13
	v_cndmask_b32_e64 v12, 0, 1, vcc
	v_cmp_gt_i32_e32 vcc, 1, v8
	v_or_b32_e32 v12, v20, v12
	s_nop 0
	v_cndmask_b32_e32 v7, v16, v7, vcc
	v_cmp_gt_i32_e32 vcc, 1, v14
	v_and_b32_e32 v15, 7, v7
	v_cmp_eq_u32_e64 s[0:1], 3, v15
	v_cndmask_b32_e32 v12, v18, v12, vcc
	v_cmp_lt_i32_e32 vcc, 5, v15
	v_lshrrev_b32_e32 v7, 2, v7
	v_and_b32_e32 v16, 7, v12
	s_or_b64 vcc, s[0:1], vcc
	v_cmp_lt_i32_e64 s[2:3], 5, v16
	v_cmp_eq_u32_e64 s[4:5], 3, v16
	v_addc_co_u32_e32 v7, vcc, 0, v7, vcc
	v_lshrrev_b32_e32 v12, 2, v12
	s_or_b64 vcc, s[4:5], s[2:3]
	v_addc_co_u32_e32 v12, vcc, 0, v12, vcc
	v_cmp_gt_i32_e32 vcc, 31, v8
	s_nop 1
	v_cndmask_b32_e32 v7, v6, v7, vcc
	v_cmp_gt_i32_e32 vcc, 31, v14
	s_nop 1
	v_cndmask_b32_e32 v12, v6, v12, vcc
	v_cmp_eq_u32_e32 vcc, s10, v8
	s_nop 1
	v_cndmask_b32_e32 v1, v7, v1, vcc
	v_cmp_eq_u32_e32 vcc, s10, v14
	v_bitop3_b32 v1, v10, s14, v1 bitop3:0xc8
	s_nop 0
	v_cndmask_b32_e32 v7, v12, v11, vcc
	v_and_or_b32 v7, v13, s11, v7
	v_lshl_or_b32 v1, v7, 16, v1
	global_store_dword v[4:5], v1, off
	global_load_dword v1, v[2:3], off offset:836
	v_lshrrev_b32_e32 v7, 16, v9
	v_lshl_add_u64 v[4:5], v[4:5], 0, s[8:9]
	s_waitcnt vmcnt(0)
	v_mul_f16_sdwa v8, v7, v1 dst_sel:DWORD dst_unused:UNUSED_PAD src0_sel:DWORD src1_sel:WORD_1
	v_mul_f16_sdwa v10, v9, v1 dst_sel:DWORD dst_unused:UNUSED_PAD src0_sel:DWORD src1_sel:WORD_1
	v_fma_f16 v8, v9, v1, v8
	v_fma_f16 v1, v1, v7, -v10
	v_cvt_f32_f16_e32 v7, v8
	v_cvt_f32_f16_e32 v1, v1
	v_cvt_f64_f32_e32 v[8:9], v7
	v_cvt_f64_f32_e32 v[10:11], v1
	v_mul_f64 v[8:9], v[8:9], s[6:7]
	v_mul_f64 v[10:11], v[10:11], s[6:7]
	v_and_or_b32 v1, v9, s13, v8
	v_and_or_b32 v10, v11, s13, v10
	v_cmp_ne_u32_e32 vcc, 0, v1
	v_lshrrev_b32_e32 v7, 8, v9
	v_bfe_u32 v8, v9, 20, 11
	v_cndmask_b32_e64 v1, 0, 1, vcc
	v_cmp_ne_u32_e32 vcc, 0, v10
	v_lshrrev_b32_e32 v12, 8, v11
	v_bfe_u32 v13, v11, 20, 11
	v_sub_u32_e32 v14, 0x3f1, v8
	v_cndmask_b32_e64 v10, 0, 1, vcc
	v_and_or_b32 v1, v7, s12, v1
	v_sub_u32_e32 v15, 0x3f1, v13
	v_med3_i32 v7, v14, 0, 13
	v_and_or_b32 v10, v12, s12, v10
	v_or_b32_e32 v14, 0x1000, v1
	v_add_u32_e32 v8, 0xfffffc10, v8
	v_med3_i32 v12, v15, 0, 13
	v_cmp_ne_u32_e32 vcc, 0, v1
	v_or_b32_e32 v16, 0x1000, v10
	v_lshrrev_b32_e32 v18, v7, v14
	v_add_u32_e32 v13, 0xfffffc10, v13
	v_lshl_or_b32 v15, v8, 12, v1
	v_cndmask_b32_e64 v1, 0, 1, vcc
	v_cmp_ne_u32_e32 vcc, 0, v10
	v_lshrrev_b32_e32 v19, v12, v16
	v_lshlrev_b32_e32 v7, v7, v18
	v_lshl_or_b32 v17, v13, 12, v10
	v_cndmask_b32_e64 v10, 0, 1, vcc
	v_lshlrev_b32_e32 v12, v12, v19
	v_cmp_ne_u32_e32 vcc, v7, v14
	v_lshl_or_b32 v1, v1, 9, v6
	v_lshl_or_b32 v10, v10, 9, v6
	v_cndmask_b32_e64 v7, 0, 1, vcc
	v_cmp_ne_u32_e32 vcc, v12, v16
	v_or_b32_e32 v7, v18, v7
	v_and_b32_sdwa v9, v9, s11 dst_sel:DWORD dst_unused:UNUSED_PAD src0_sel:WORD_1 src1_sel:DWORD
	v_cndmask_b32_e64 v12, 0, 1, vcc
	v_cmp_gt_i32_e32 vcc, 1, v8
	v_or_b32_e32 v12, v19, v12
	v_lshrrev_b32_e32 v11, 16, v11
	v_cndmask_b32_e32 v7, v15, v7, vcc
	v_cmp_gt_i32_e32 vcc, 1, v13
	v_and_b32_e32 v14, 7, v7
	v_cmp_eq_u32_e64 s[0:1], 3, v14
	v_cndmask_b32_e32 v12, v17, v12, vcc
	v_cmp_lt_i32_e32 vcc, 5, v14
	v_lshrrev_b32_e32 v7, 2, v7
	v_and_b32_e32 v15, 7, v12
	s_or_b64 vcc, s[0:1], vcc
	v_cmp_lt_i32_e64 s[2:3], 5, v15
	v_cmp_eq_u32_e64 s[4:5], 3, v15
	v_addc_co_u32_e32 v7, vcc, 0, v7, vcc
	v_lshrrev_b32_e32 v12, 2, v12
	s_or_b64 vcc, s[4:5], s[2:3]
	v_addc_co_u32_e32 v12, vcc, 0, v12, vcc
	v_cmp_gt_i32_e32 vcc, 31, v8
	s_nop 1
	v_cndmask_b32_e32 v7, v6, v7, vcc
	v_cmp_gt_i32_e32 vcc, 31, v13
	s_nop 1
	v_cndmask_b32_e32 v12, v6, v12, vcc
	v_cmp_eq_u32_e32 vcc, s10, v8
	s_nop 1
	v_cndmask_b32_e32 v1, v7, v1, vcc
	v_cmp_eq_u32_e32 vcc, s10, v13
	v_bitop3_b32 v1, v9, s14, v1 bitop3:0xc8
	s_nop 0
	v_cndmask_b32_e32 v7, v12, v10, vcc
	v_and_or_b32 v7, v11, s11, v7
	v_lshl_or_b32 v1, v7, 16, v1
	global_store_dword v[4:5], v1, off
	global_load_dword v1, v[2:3], off offset:1484
	v_add_u32_e32 v7, 0x1500, v0
	ds_read2_b32 v[8:9], v7 offset0:51 offset1:213
	v_lshl_add_u64 v[4:5], v[4:5], 0, s[8:9]
	ds_read_b32 v0, v0 offset:6876
	s_waitcnt lgkmcnt(1)
	v_lshrrev_b32_e32 v7, 16, v8
	s_waitcnt vmcnt(0)
	v_mul_f16_sdwa v10, v7, v1 dst_sel:DWORD dst_unused:UNUSED_PAD src0_sel:DWORD src1_sel:WORD_1
	v_mul_f16_sdwa v11, v8, v1 dst_sel:DWORD dst_unused:UNUSED_PAD src0_sel:DWORD src1_sel:WORD_1
	v_fma_f16 v8, v8, v1, v10
	v_fma_f16 v1, v1, v7, -v11
	v_cvt_f32_f16_e32 v7, v8
	v_cvt_f32_f16_e32 v1, v1
	v_cvt_f64_f32_e32 v[10:11], v7
	v_cvt_f64_f32_e32 v[12:13], v1
	v_mul_f64 v[10:11], v[10:11], s[6:7]
	v_mul_f64 v[12:13], v[12:13], s[6:7]
	v_and_or_b32 v1, v11, s13, v10
	v_lshrrev_b32_e32 v7, 8, v11
	v_bfe_u32 v8, v11, 20, 11
	v_and_b32_sdwa v10, v11, s11 dst_sel:DWORD dst_unused:UNUSED_PAD src0_sel:WORD_1 src1_sel:DWORD
	v_and_or_b32 v11, v13, s13, v12
	v_cmp_ne_u32_e32 vcc, 0, v1
	v_lshrrev_b32_e32 v12, 8, v13
	v_bfe_u32 v14, v13, 20, 11
	v_cndmask_b32_e64 v1, 0, 1, vcc
	v_cmp_ne_u32_e32 vcc, 0, v11
	v_sub_u32_e32 v15, 0x3f1, v8
	v_and_or_b32 v1, v7, s12, v1
	v_cndmask_b32_e64 v11, 0, 1, vcc
	v_sub_u32_e32 v16, 0x3f1, v14
	v_med3_i32 v7, v15, 0, 13
	v_and_or_b32 v11, v12, s12, v11
	v_or_b32_e32 v15, 0x1000, v1
	v_add_u32_e32 v8, 0xfffffc10, v8
	v_med3_i32 v12, v16, 0, 13
	v_cmp_ne_u32_e32 vcc, 0, v1
	v_or_b32_e32 v17, 0x1000, v11
	v_lshrrev_b32_e32 v19, v7, v15
	v_add_u32_e32 v14, 0xfffffc10, v14
	v_lshl_or_b32 v16, v8, 12, v1
	v_cndmask_b32_e64 v1, 0, 1, vcc
	v_cmp_ne_u32_e32 vcc, 0, v11
	v_lshrrev_b32_e32 v20, v12, v17
	v_lshlrev_b32_e32 v7, v7, v19
	v_lshl_or_b32 v18, v14, 12, v11
	v_cndmask_b32_e64 v11, 0, 1, vcc
	v_lshlrev_b32_e32 v12, v12, v20
	v_cmp_ne_u32_e32 vcc, v7, v15
	v_lshl_or_b32 v1, v1, 9, v6
	v_lshl_or_b32 v11, v11, 9, v6
	v_cndmask_b32_e64 v7, 0, 1, vcc
	v_cmp_ne_u32_e32 vcc, v12, v17
	v_or_b32_e32 v7, v19, v7
	v_lshrrev_b32_e32 v13, 16, v13
	v_cndmask_b32_e64 v12, 0, 1, vcc
	v_cmp_gt_i32_e32 vcc, 1, v8
	v_or_b32_e32 v12, v20, v12
	s_nop 0
	v_cndmask_b32_e32 v7, v16, v7, vcc
	v_cmp_gt_i32_e32 vcc, 1, v14
	v_and_b32_e32 v15, 7, v7
	v_cmp_eq_u32_e64 s[0:1], 3, v15
	v_cndmask_b32_e32 v12, v18, v12, vcc
	v_cmp_lt_i32_e32 vcc, 5, v15
	v_lshrrev_b32_e32 v7, 2, v7
	v_and_b32_e32 v16, 7, v12
	s_or_b64 vcc, s[0:1], vcc
	v_cmp_lt_i32_e64 s[2:3], 5, v16
	v_cmp_eq_u32_e64 s[4:5], 3, v16
	v_addc_co_u32_e32 v7, vcc, 0, v7, vcc
	v_lshrrev_b32_e32 v12, 2, v12
	s_or_b64 vcc, s[4:5], s[2:3]
	v_addc_co_u32_e32 v12, vcc, 0, v12, vcc
	v_cmp_gt_i32_e32 vcc, 31, v8
	s_nop 1
	v_cndmask_b32_e32 v7, v6, v7, vcc
	v_cmp_gt_i32_e32 vcc, 31, v14
	s_nop 1
	v_cndmask_b32_e32 v12, v6, v12, vcc
	v_cmp_eq_u32_e32 vcc, s10, v8
	s_nop 1
	v_cndmask_b32_e32 v1, v7, v1, vcc
	v_cmp_eq_u32_e32 vcc, s10, v14
	v_bitop3_b32 v1, v10, s14, v1 bitop3:0xc8
	s_nop 0
	v_cndmask_b32_e32 v7, v12, v11, vcc
	v_and_or_b32 v7, v13, s11, v7
	v_lshl_or_b32 v1, v7, 16, v1
	global_store_dword v[4:5], v1, off
	global_load_dword v1, v[2:3], off offset:2132
	v_lshrrev_b32_e32 v7, 16, v9
	v_lshl_add_u64 v[4:5], v[4:5], 0, s[8:9]
	s_waitcnt vmcnt(0)
	v_mul_f16_sdwa v8, v7, v1 dst_sel:DWORD dst_unused:UNUSED_PAD src0_sel:DWORD src1_sel:WORD_1
	v_mul_f16_sdwa v10, v9, v1 dst_sel:DWORD dst_unused:UNUSED_PAD src0_sel:DWORD src1_sel:WORD_1
	v_fma_f16 v8, v9, v1, v8
	v_fma_f16 v1, v1, v7, -v10
	v_cvt_f32_f16_e32 v7, v8
	v_cvt_f32_f16_e32 v1, v1
	v_cvt_f64_f32_e32 v[8:9], v7
	v_cvt_f64_f32_e32 v[10:11], v1
	v_mul_f64 v[8:9], v[8:9], s[6:7]
	v_mul_f64 v[10:11], v[10:11], s[6:7]
	v_and_or_b32 v1, v9, s13, v8
	v_and_or_b32 v10, v11, s13, v10
	v_cmp_ne_u32_e32 vcc, 0, v1
	v_lshrrev_b32_e32 v7, 8, v9
	v_bfe_u32 v8, v9, 20, 11
	v_cndmask_b32_e64 v1, 0, 1, vcc
	v_cmp_ne_u32_e32 vcc, 0, v10
	v_lshrrev_b32_e32 v12, 8, v11
	v_bfe_u32 v13, v11, 20, 11
	v_sub_u32_e32 v14, 0x3f1, v8
	v_cndmask_b32_e64 v10, 0, 1, vcc
	v_and_or_b32 v1, v7, s12, v1
	v_sub_u32_e32 v15, 0x3f1, v13
	v_med3_i32 v7, v14, 0, 13
	v_and_or_b32 v10, v12, s12, v10
	v_or_b32_e32 v14, 0x1000, v1
	v_add_u32_e32 v8, 0xfffffc10, v8
	v_med3_i32 v12, v15, 0, 13
	v_cmp_ne_u32_e32 vcc, 0, v1
	v_or_b32_e32 v16, 0x1000, v10
	v_lshrrev_b32_e32 v18, v7, v14
	v_add_u32_e32 v13, 0xfffffc10, v13
	v_lshl_or_b32 v15, v8, 12, v1
	v_cndmask_b32_e64 v1, 0, 1, vcc
	v_cmp_ne_u32_e32 vcc, 0, v10
	v_lshrrev_b32_e32 v19, v12, v16
	v_lshlrev_b32_e32 v7, v7, v18
	v_lshl_or_b32 v17, v13, 12, v10
	v_cndmask_b32_e64 v10, 0, 1, vcc
	v_lshlrev_b32_e32 v12, v12, v19
	v_cmp_ne_u32_e32 vcc, v7, v14
	v_lshl_or_b32 v1, v1, 9, v6
	v_lshl_or_b32 v10, v10, 9, v6
	v_cndmask_b32_e64 v7, 0, 1, vcc
	v_cmp_ne_u32_e32 vcc, v12, v16
	v_or_b32_e32 v7, v18, v7
	v_and_b32_sdwa v9, v9, s11 dst_sel:DWORD dst_unused:UNUSED_PAD src0_sel:WORD_1 src1_sel:DWORD
	v_cndmask_b32_e64 v12, 0, 1, vcc
	v_cmp_gt_i32_e32 vcc, 1, v8
	v_or_b32_e32 v12, v19, v12
	v_lshrrev_b32_e32 v11, 16, v11
	v_cndmask_b32_e32 v7, v15, v7, vcc
	v_cmp_gt_i32_e32 vcc, 1, v13
	v_and_b32_e32 v14, 7, v7
	v_cmp_eq_u32_e64 s[0:1], 3, v14
	v_cndmask_b32_e32 v12, v17, v12, vcc
	v_cmp_lt_i32_e32 vcc, 5, v14
	v_lshrrev_b32_e32 v7, 2, v7
	v_and_b32_e32 v15, 7, v12
	s_or_b64 vcc, s[0:1], vcc
	v_cmp_lt_i32_e64 s[2:3], 5, v15
	v_cmp_eq_u32_e64 s[4:5], 3, v15
	v_addc_co_u32_e32 v7, vcc, 0, v7, vcc
	v_lshrrev_b32_e32 v12, 2, v12
	s_or_b64 vcc, s[4:5], s[2:3]
	v_addc_co_u32_e32 v12, vcc, 0, v12, vcc
	v_cmp_gt_i32_e32 vcc, 31, v8
	s_nop 1
	v_cndmask_b32_e32 v7, v6, v7, vcc
	v_cmp_gt_i32_e32 vcc, 31, v13
	s_nop 1
	v_cndmask_b32_e32 v12, v6, v12, vcc
	v_cmp_eq_u32_e32 vcc, s10, v8
	s_nop 1
	v_cndmask_b32_e32 v1, v7, v1, vcc
	v_cmp_eq_u32_e32 vcc, s10, v13
	v_bitop3_b32 v1, v9, s14, v1 bitop3:0xc8
	s_nop 0
	v_cndmask_b32_e32 v7, v12, v10, vcc
	v_and_or_b32 v7, v11, s11, v7
	v_lshl_or_b32 v1, v7, 16, v1
	global_store_dword v[4:5], v1, off
	global_load_dword v1, v[2:3], off offset:2780
	s_waitcnt lgkmcnt(0)
	v_lshrrev_b32_e32 v2, 16, v0
	s_waitcnt vmcnt(0)
	v_mul_f16_sdwa v3, v2, v1 dst_sel:DWORD dst_unused:UNUSED_PAD src0_sel:DWORD src1_sel:WORD_1
	v_mul_f16_sdwa v7, v0, v1 dst_sel:DWORD dst_unused:UNUSED_PAD src0_sel:DWORD src1_sel:WORD_1
	v_fma_f16 v0, v0, v1, v3
	v_fma_f16 v1, v1, v2, -v7
	v_cvt_f32_f16_e32 v0, v0
	v_cvt_f32_f16_e32 v2, v1
	v_cvt_f64_f32_e32 v[0:1], v0
	v_cvt_f64_f32_e32 v[2:3], v2
	v_mul_f64 v[0:1], v[0:1], s[6:7]
	v_mul_f64 v[2:3], v[2:3], s[6:7]
	v_and_or_b32 v0, v1, s13, v0
	v_and_or_b32 v2, v3, s13, v2
	v_cmp_ne_u32_e32 vcc, 0, v0
	v_lshrrev_b32_e32 v7, 8, v1
	v_bfe_u32 v8, v1, 20, 11
	v_cndmask_b32_e64 v0, 0, 1, vcc
	v_cmp_ne_u32_e32 vcc, 0, v2
	v_lshrrev_b32_e32 v9, 8, v3
	v_bfe_u32 v10, v3, 20, 11
	v_sub_u32_e32 v11, 0x3f1, v8
	v_cndmask_b32_e64 v2, 0, 1, vcc
	v_and_or_b32 v0, v7, s12, v0
	v_sub_u32_e32 v12, 0x3f1, v10
	v_med3_i32 v7, v11, 0, 13
	v_and_or_b32 v2, v9, s12, v2
	v_or_b32_e32 v11, 0x1000, v0
	v_add_u32_e32 v8, 0xfffffc10, v8
	v_med3_i32 v9, v12, 0, 13
	v_cmp_ne_u32_e32 vcc, 0, v0
	v_or_b32_e32 v13, 0x1000, v2
	v_lshrrev_b32_e32 v15, v7, v11
	v_add_u32_e32 v10, 0xfffffc10, v10
	v_lshl_or_b32 v12, v8, 12, v0
	v_cndmask_b32_e64 v0, 0, 1, vcc
	v_cmp_ne_u32_e32 vcc, 0, v2
	v_lshrrev_b32_e32 v16, v9, v13
	v_lshlrev_b32_e32 v7, v7, v15
	v_lshl_or_b32 v14, v10, 12, v2
	v_cndmask_b32_e64 v2, 0, 1, vcc
	v_lshlrev_b32_e32 v9, v9, v16
	v_cmp_ne_u32_e32 vcc, v7, v11
	v_lshl_or_b32 v0, v0, 9, v6
	v_lshl_or_b32 v2, v2, 9, v6
	v_cndmask_b32_e64 v7, 0, 1, vcc
	v_cmp_ne_u32_e32 vcc, v9, v13
	v_or_b32_e32 v7, v15, v7
	v_and_b32_sdwa v1, v1, s11 dst_sel:DWORD dst_unused:UNUSED_PAD src0_sel:WORD_1 src1_sel:DWORD
	v_cndmask_b32_e64 v9, 0, 1, vcc
	v_cmp_gt_i32_e32 vcc, 1, v8
	v_or_b32_e32 v9, v16, v9
	v_lshrrev_b32_e32 v3, 16, v3
	v_cndmask_b32_e32 v7, v12, v7, vcc
	v_cmp_gt_i32_e32 vcc, 1, v10
	v_and_b32_e32 v11, 7, v7
	v_cmp_eq_u32_e64 s[0:1], 3, v11
	v_cndmask_b32_e32 v9, v14, v9, vcc
	v_cmp_lt_i32_e32 vcc, 5, v11
	v_lshrrev_b32_e32 v7, 2, v7
	v_and_b32_e32 v12, 7, v9
	s_or_b64 vcc, s[0:1], vcc
	v_cmp_lt_i32_e64 s[2:3], 5, v12
	v_cmp_eq_u32_e64 s[4:5], 3, v12
	v_addc_co_u32_e32 v7, vcc, 0, v7, vcc
	v_lshrrev_b32_e32 v9, 2, v9
	s_or_b64 vcc, s[4:5], s[2:3]
	v_addc_co_u32_e32 v9, vcc, 0, v9, vcc
	v_cmp_gt_i32_e32 vcc, 31, v8
	s_nop 1
	v_cndmask_b32_e32 v7, v6, v7, vcc
	v_cmp_gt_i32_e32 vcc, 31, v10
	s_nop 1
	v_cndmask_b32_e32 v6, v6, v9, vcc
	v_cmp_eq_u32_e32 vcc, s10, v8
	s_nop 1
	v_cndmask_b32_e32 v0, v7, v0, vcc
	v_cmp_eq_u32_e32 vcc, s10, v10
	v_bitop3_b32 v0, v1, s14, v0 bitop3:0xc8
	s_nop 0
	v_cndmask_b32_e32 v2, v6, v2, vcc
	v_and_or_b32 v2, v3, s11, v2
	v_lshl_or_b32 v2, v2, 16, v0
	v_lshl_add_u64 v[0:1], v[4:5], 0, s[8:9]
	global_store_dword v[0:1], v2, off
.LBB0_15:
	s_endpgm
	.section	.rodata,"a",@progbits
	.p2align	6, 0x0
	.amdhsa_kernel bluestein_single_back_len1782_dim1_half_op_CI_CI
		.amdhsa_group_segment_fixed_size 7128
		.amdhsa_private_segment_fixed_size 0
		.amdhsa_kernarg_size 104
		.amdhsa_user_sgpr_count 2
		.amdhsa_user_sgpr_dispatch_ptr 0
		.amdhsa_user_sgpr_queue_ptr 0
		.amdhsa_user_sgpr_kernarg_segment_ptr 1
		.amdhsa_user_sgpr_dispatch_id 0
		.amdhsa_user_sgpr_kernarg_preload_length 0
		.amdhsa_user_sgpr_kernarg_preload_offset 0
		.amdhsa_user_sgpr_private_segment_size 0
		.amdhsa_uses_dynamic_stack 0
		.amdhsa_enable_private_segment 0
		.amdhsa_system_sgpr_workgroup_id_x 1
		.amdhsa_system_sgpr_workgroup_id_y 0
		.amdhsa_system_sgpr_workgroup_id_z 0
		.amdhsa_system_sgpr_workgroup_info 0
		.amdhsa_system_vgpr_workitem_id 0
		.amdhsa_next_free_vgpr 167
		.amdhsa_next_free_sgpr 26
		.amdhsa_accum_offset 168
		.amdhsa_reserve_vcc 1
		.amdhsa_float_round_mode_32 0
		.amdhsa_float_round_mode_16_64 0
		.amdhsa_float_denorm_mode_32 3
		.amdhsa_float_denorm_mode_16_64 3
		.amdhsa_dx10_clamp 1
		.amdhsa_ieee_mode 1
		.amdhsa_fp16_overflow 0
		.amdhsa_tg_split 0
		.amdhsa_exception_fp_ieee_invalid_op 0
		.amdhsa_exception_fp_denorm_src 0
		.amdhsa_exception_fp_ieee_div_zero 0
		.amdhsa_exception_fp_ieee_overflow 0
		.amdhsa_exception_fp_ieee_underflow 0
		.amdhsa_exception_fp_ieee_inexact 0
		.amdhsa_exception_int_div_zero 0
	.end_amdhsa_kernel
	.text
.Lfunc_end0:
	.size	bluestein_single_back_len1782_dim1_half_op_CI_CI, .Lfunc_end0-bluestein_single_back_len1782_dim1_half_op_CI_CI
                                        ; -- End function
	.section	.AMDGPU.csdata,"",@progbits
; Kernel info:
; codeLenInByte = 38148
; NumSgprs: 32
; NumVgprs: 167
; NumAgprs: 0
; TotalNumVgprs: 167
; ScratchSize: 0
; MemoryBound: 0
; FloatMode: 240
; IeeeMode: 1
; LDSByteSize: 7128 bytes/workgroup (compile time only)
; SGPRBlocks: 3
; VGPRBlocks: 20
; NumSGPRsForWavesPerEU: 32
; NumVGPRsForWavesPerEU: 167
; AccumOffset: 168
; Occupancy: 3
; WaveLimiterHint : 1
; COMPUTE_PGM_RSRC2:SCRATCH_EN: 0
; COMPUTE_PGM_RSRC2:USER_SGPR: 2
; COMPUTE_PGM_RSRC2:TRAP_HANDLER: 0
; COMPUTE_PGM_RSRC2:TGID_X_EN: 1
; COMPUTE_PGM_RSRC2:TGID_Y_EN: 0
; COMPUTE_PGM_RSRC2:TGID_Z_EN: 0
; COMPUTE_PGM_RSRC2:TIDIG_COMP_CNT: 0
; COMPUTE_PGM_RSRC3_GFX90A:ACCUM_OFFSET: 41
; COMPUTE_PGM_RSRC3_GFX90A:TG_SPLIT: 0
	.text
	.p2alignl 6, 3212836864
	.fill 256, 4, 3212836864
	.type	__hip_cuid_de8b884640381ce0,@object ; @__hip_cuid_de8b884640381ce0
	.section	.bss,"aw",@nobits
	.globl	__hip_cuid_de8b884640381ce0
__hip_cuid_de8b884640381ce0:
	.byte	0                               ; 0x0
	.size	__hip_cuid_de8b884640381ce0, 1

	.ident	"AMD clang version 19.0.0git (https://github.com/RadeonOpenCompute/llvm-project roc-6.4.0 25133 c7fe45cf4b819c5991fe208aaa96edf142730f1d)"
	.section	".note.GNU-stack","",@progbits
	.addrsig
	.addrsig_sym __hip_cuid_de8b884640381ce0
	.amdgpu_metadata
---
amdhsa.kernels:
  - .agpr_count:     0
    .args:
      - .actual_access:  read_only
        .address_space:  global
        .offset:         0
        .size:           8
        .value_kind:     global_buffer
      - .actual_access:  read_only
        .address_space:  global
        .offset:         8
        .size:           8
        .value_kind:     global_buffer
      - .actual_access:  read_only
        .address_space:  global
        .offset:         16
        .size:           8
        .value_kind:     global_buffer
      - .actual_access:  read_only
        .address_space:  global
        .offset:         24
        .size:           8
        .value_kind:     global_buffer
      - .actual_access:  read_only
        .address_space:  global
        .offset:         32
        .size:           8
        .value_kind:     global_buffer
      - .offset:         40
        .size:           8
        .value_kind:     by_value
      - .address_space:  global
        .offset:         48
        .size:           8
        .value_kind:     global_buffer
      - .address_space:  global
        .offset:         56
        .size:           8
        .value_kind:     global_buffer
      - .address_space:  global
        .offset:         64
        .size:           8
        .value_kind:     global_buffer
      - .address_space:  global
        .offset:         72
        .size:           8
        .value_kind:     global_buffer
      - .offset:         80
        .size:           4
        .value_kind:     by_value
      - .address_space:  global
        .offset:         88
        .size:           8
        .value_kind:     global_buffer
      - .address_space:  global
        .offset:         96
        .size:           8
        .value_kind:     global_buffer
    .group_segment_fixed_size: 7128
    .kernarg_segment_align: 8
    .kernarg_segment_size: 104
    .language:       OpenCL C
    .language_version:
      - 2
      - 0
    .max_flat_workgroup_size: 99
    .name:           bluestein_single_back_len1782_dim1_half_op_CI_CI
    .private_segment_fixed_size: 0
    .sgpr_count:     32
    .sgpr_spill_count: 0
    .symbol:         bluestein_single_back_len1782_dim1_half_op_CI_CI.kd
    .uniform_work_group_size: 1
    .uses_dynamic_stack: false
    .vgpr_count:     167
    .vgpr_spill_count: 0
    .wavefront_size: 64
amdhsa.target:   amdgcn-amd-amdhsa--gfx950
amdhsa.version:
  - 1
  - 2
...

	.end_amdgpu_metadata
